;; amdgpu-corpus repo=ROCm/rocFFT kind=compiled arch=gfx950 opt=O3
	.text
	.amdgcn_target "amdgcn-amd-amdhsa--gfx950"
	.amdhsa_code_object_version 6
	.protected	bluestein_single_fwd_len1836_dim1_sp_op_CI_CI ; -- Begin function bluestein_single_fwd_len1836_dim1_sp_op_CI_CI
	.globl	bluestein_single_fwd_len1836_dim1_sp_op_CI_CI
	.p2align	8
	.type	bluestein_single_fwd_len1836_dim1_sp_op_CI_CI,@function
bluestein_single_fwd_len1836_dim1_sp_op_CI_CI: ; @bluestein_single_fwd_len1836_dim1_sp_op_CI_CI
; %bb.0:
	s_load_dwordx4 s[8:11], s[0:1], 0x28
	v_mul_u32_u24_e32 v1, 0x1ad, v0
	v_mov_b32_e32 v83, 0
	v_add_u32_sdwa v250, s2, v1 dst_sel:DWORD dst_unused:UNUSED_PAD src0_sel:DWORD src1_sel:WORD_1
	v_mov_b32_e32 v251, v83
	s_waitcnt lgkmcnt(0)
	v_cmp_gt_u64_e32 vcc, s[8:9], v[250:251]
	s_and_saveexec_b64 s[2:3], vcc
	s_cbranch_execz .LBB0_15
; %bb.1:
	s_load_dwordx2 s[8:9], s[0:1], 0x0
	s_load_dwordx2 s[12:13], s[0:1], 0x38
	s_movk_i32 s2, 0x99
	v_mul_lo_u16_sdwa v1, v1, s2 dst_sel:DWORD dst_unused:UNUSED_PAD src0_sel:WORD_1 src1_sel:DWORD
	v_sub_u16_e32 v82, v0, v1
	s_movk_i32 s2, 0x6c
	v_cmp_gt_u16_e64 s[2:3], s2, v82
	v_lshlrev_b32_e32 v80, 3, v82
	s_and_saveexec_b64 s[14:15], s[2:3]
	s_cbranch_execz .LBB0_3
; %bb.2:
	s_load_dwordx2 s[4:5], s[0:1], 0x18
	v_mov_b32_e32 v0, s10
	v_mov_b32_e32 v1, s11
	;; [unrolled: 1-line block ×4, first 2 shown]
	s_waitcnt lgkmcnt(0)
	s_load_dwordx4 s[4:7], s[4:5], 0x0
	v_lshl_add_u64 v[18:19], s[8:9], 0, v[80:81]
	s_waitcnt lgkmcnt(0)
	v_mad_u64_u32 v[2:3], s[10:11], s6, v250, 0
	v_mad_u64_u32 v[4:5], s[10:11], s4, v82, 0
	v_mov_b32_e32 v6, v3
	v_mov_b32_e32 v8, v5
	v_mad_u64_u32 v[6:7], s[6:7], s7, v250, v[6:7]
	v_mov_b32_e32 v3, v6
	v_mad_u64_u32 v[6:7], s[6:7], s5, v82, v[8:9]
	v_mov_b32_e32 v5, v6
	v_lshl_add_u64 v[0:1], v[2:3], 3, v[0:1]
	v_lshl_add_u64 v[2:3], v[4:5], 3, v[0:1]
	v_mad_u64_u32 v[6:7], s[6:7], s4, v68, v[2:3]
	s_mulk_i32 s5, 0x360
	v_add_u32_e32 v7, s5, v7
	v_mad_u64_u32 v[8:9], s[6:7], s4, v68, v[6:7]
	v_add_u32_e32 v9, s5, v9
	v_mad_u64_u32 v[16:17], s[6:7], s4, v68, v[8:9]
	s_movk_i32 s6, 0x1000
	s_nop 0
	v_add_co_u32_e32 v20, vcc, s6, v18
	v_add_u32_e32 v17, s5, v17
	s_movk_i32 s7, 0x2000
	v_addc_co_u32_e32 v21, vcc, 0, v19, vcc
	global_load_dwordx2 v[0:1], v[2:3], off
	global_load_dwordx2 v[4:5], v[6:7], off
	s_nop 0
	global_load_dwordx2 v[2:3], v[8:9], off
	global_load_dwordx2 v[12:13], v80, s[8:9]
	global_load_dwordx2 v[10:11], v80, s[8:9] offset:864
	global_load_dwordx2 v[6:7], v80, s[8:9] offset:1728
	s_nop 0
	global_load_dwordx2 v[8:9], v80, s[8:9] offset:2592
	global_load_dwordx2 v[14:15], v80, s[8:9] offset:3456
	v_add_co_u32_e32 v22, vcc, s7, v18
	global_load_dwordx2 v[24:25], v[20:21], off offset:224
	global_load_dwordx2 v[26:27], v[20:21], off offset:1088
	;; [unrolled: 1-line block ×4, first 2 shown]
	global_load_dwordx2 v[32:33], v[16:17], off
	v_mad_u64_u32 v[16:17], s[6:7], s4, v68, v[16:17]
	v_add_u32_e32 v17, s5, v17
	global_load_dwordx2 v[34:35], v[16:17], off
	v_mad_u64_u32 v[16:17], s[6:7], s4, v68, v[16:17]
	v_add_u32_e32 v17, s5, v17
	global_load_dwordx2 v[36:37], v[16:17], off
	v_mad_u64_u32 v[16:17], s[6:7], s4, v68, v[16:17]
	v_add_u32_e32 v17, s5, v17
	global_load_dwordx2 v[38:39], v[16:17], off
	v_mad_u64_u32 v[16:17], s[6:7], s4, v68, v[16:17]
	v_add_u32_e32 v17, s5, v17
	global_load_dwordx2 v[40:41], v[16:17], off
	v_mad_u64_u32 v[16:17], s[6:7], s4, v68, v[16:17]
	v_add_u32_e32 v17, s5, v17
	global_load_dwordx2 v[42:43], v[16:17], off
	v_mad_u64_u32 v[16:17], s[6:7], s4, v68, v[16:17]
	v_add_u32_e32 v17, s5, v17
	global_load_dwordx2 v[44:45], v[16:17], off
	v_mad_u64_u32 v[16:17], s[6:7], s4, v68, v[16:17]
	v_add_u32_e32 v17, s5, v17
	global_load_dwordx2 v[46:47], v[16:17], off
	global_load_dwordx2 v[48:49], v[20:21], off offset:3680
	v_mad_u64_u32 v[16:17], s[6:7], s4, v68, v[16:17]
	v_add_u32_e32 v17, s5, v17
	global_load_dwordx2 v[20:21], v[16:17], off
	v_mad_u64_u32 v[16:17], s[6:7], s4, v68, v[16:17]
	v_addc_co_u32_e32 v23, vcc, 0, v19, vcc
	v_add_u32_e32 v17, s5, v17
	global_load_dwordx2 v[50:51], v[22:23], off offset:448
	global_load_dwordx2 v[52:53], v[16:17], off
	global_load_dwordx2 v[54:55], v[22:23], off offset:1312
	global_load_dwordx2 v[56:57], v[22:23], off offset:2176
	v_mad_u64_u32 v[16:17], s[6:7], s4, v68, v[16:17]
	v_add_u32_e32 v17, s5, v17
	global_load_dwordx2 v[58:59], v[16:17], off
	v_mad_u64_u32 v[16:17], s[6:7], s4, v68, v[16:17]
	v_add_u32_e32 v17, s5, v17
	global_load_dwordx2 v[60:61], v[16:17], off
	global_load_dwordx2 v[62:63], v[22:23], off offset:3040
	global_load_dwordx2 v[64:65], v[22:23], off offset:3904
	v_mad_u64_u32 v[16:17], s[6:7], s4, v68, v[16:17]
	s_movk_i32 s6, 0x3000
	s_nop 0
	v_add_co_u32_e32 v18, vcc, s6, v18
	v_add_u32_e32 v17, s5, v17
	s_nop 0
	v_addc_co_u32_e32 v19, vcc, 0, v19, vcc
	global_load_dwordx2 v[22:23], v[16:17], off
	global_load_dwordx2 v[66:67], v[18:19], off offset:672
	v_mad_u64_u32 v[16:17], s[6:7], s4, v68, v[16:17]
	v_add_u32_e32 v17, s5, v17
	global_load_dwordx2 v[68:69], v[16:17], off
	global_load_dwordx2 v[70:71], v[18:19], off offset:1536
	v_add_u32_e32 v18, 0x400, v80
	s_waitcnt vmcnt(30)
	v_mul_f32_e32 v16, v1, v13
	v_mul_f32_e32 v13, v0, v13
	v_fmac_f32_e32 v16, v0, v12
	v_fma_f32 v17, v1, v12, -v13
	s_waitcnt vmcnt(29)
	v_mul_f32_e32 v0, v5, v11
	v_mul_f32_e32 v1, v4, v11
	v_fmac_f32_e32 v0, v4, v10
	v_fma_f32 v1, v5, v10, -v1
	ds_write2_b64 v80, v[16:17], v[0:1] offset1:108
	s_waitcnt vmcnt(28)
	v_mul_f32_e32 v0, v3, v7
	v_mul_f32_e32 v1, v2, v7
	v_fmac_f32_e32 v0, v2, v6
	v_fma_f32 v1, v3, v6, -v1
	s_waitcnt vmcnt(21)
	v_mul_f32_e32 v2, v33, v9
	v_mul_f32_e32 v3, v32, v9
	v_fmac_f32_e32 v2, v32, v8
	v_fma_f32 v3, v33, v8, -v3
	ds_write2_b64 v18, v[0:1], v[2:3] offset0:88 offset1:196
	s_waitcnt vmcnt(20)
	v_mul_f32_e32 v0, v34, v15
	v_fma_f32 v1, v35, v14, -v0
	v_mul_f32_e32 v0, v35, v15
	s_waitcnt vmcnt(19)
	v_mul_f32_e32 v2, v37, v25
	v_mul_f32_e32 v3, v36, v25
	v_fmac_f32_e32 v0, v34, v14
	v_fmac_f32_e32 v2, v36, v24
	v_fma_f32 v3, v37, v24, -v3
	v_add_u32_e32 v4, 0xc00, v80
	ds_write2_b64 v4, v[0:1], v[2:3] offset0:48 offset1:156
	s_waitcnt vmcnt(18)
	v_mul_f32_e32 v0, v39, v27
	v_mul_f32_e32 v1, v38, v27
	s_waitcnt vmcnt(17)
	v_mul_f32_e32 v2, v41, v29
	v_mul_f32_e32 v3, v40, v29
	v_fmac_f32_e32 v0, v38, v26
	v_fma_f32 v1, v39, v26, -v1
	v_fmac_f32_e32 v2, v40, v28
	v_fma_f32 v3, v41, v28, -v3
	v_add_u32_e32 v4, 0x1000, v80
	ds_write2_b64 v4, v[0:1], v[2:3] offset0:136 offset1:244
	s_waitcnt vmcnt(16)
	v_mul_f32_e32 v0, v43, v31
	v_mul_f32_e32 v1, v42, v31
	s_waitcnt vmcnt(13)
	v_mul_f32_e32 v2, v45, v49
	v_mul_f32_e32 v3, v44, v49
	v_fmac_f32_e32 v0, v42, v30
	v_fma_f32 v1, v43, v30, -v1
	;; [unrolled: 12-line block ×5, first 2 shown]
	v_fmac_f32_e32 v2, v22, v66
	v_fma_f32 v3, v23, v66, -v3
	v_add_u32_e32 v4, 0x2c00, v80
	ds_write2_b64 v4, v[0:1], v[2:3] offset0:104 offset1:212
	s_waitcnt vmcnt(0)
	v_mul_f32_e32 v0, v69, v71
	v_mul_f32_e32 v1, v68, v71
	v_fmac_f32_e32 v0, v68, v70
	v_fma_f32 v1, v69, v70, -v1
	ds_write_b64 v80, v[0:1] offset:13824
.LBB0_3:
	s_or_b64 exec, exec, s[14:15]
	s_load_dwordx2 s[4:5], s[0:1], 0x20
	s_load_dwordx2 s[10:11], s[0:1], 0x8
	v_mov_b32_e32 v0, 0
	v_mov_b32_e32 v1, 0
	s_waitcnt lgkmcnt(0)
	s_barrier
	s_waitcnt lgkmcnt(0)
                                        ; implicit-def: $vgpr6
                                        ; implicit-def: $vgpr12
                                        ; implicit-def: $vgpr10
                                        ; implicit-def: $vgpr24
                                        ; implicit-def: $vgpr22
                                        ; implicit-def: $vgpr44
                                        ; implicit-def: $vgpr38
                                        ; implicit-def: $vgpr34
	s_and_saveexec_b64 s[0:1], s[2:3]
	s_cbranch_execz .LBB0_5
; %bb.4:
	v_add_u32_e32 v4, 0x400, v80
	ds_read2_b64 v[32:35], v4 offset0:88 offset1:196
	v_add_u32_e32 v4, 0xc00, v80
	ds_read2_b64 v[20:23], v4 offset0:48 offset1:156
	v_add_u32_e32 v4, 0x1000, v80
	v_add_u32_e32 v16, 0x2800, v80
	ds_read2_b64 v[8:11], v4 offset0:136 offset1:244
	v_add_u32_e32 v4, 0x1800, v80
	;; [unrolled: 3-line block ×3, first 2 shown]
	ds_read2_b64 v[0:3], v80 offset1:108
	ds_read2_b64 v[4:7], v4 offset0:96 offset1:204
	ds_read2_b64 v[12:15], v12 offset0:56 offset1:164
	;; [unrolled: 1-line block ×3, first 2 shown]
	ds_read_b64 v[44:45], v80 offset:13824
.LBB0_5:
	s_or_b64 exec, exec, s[0:1]
	s_mov_b32 s14, 0xbf2c7751
	s_waitcnt lgkmcnt(0)
	v_pk_add_f32 v[56:57], v[44:45], v[2:3]
	v_pk_add_f32 v[16:17], v[2:3], v[44:45] neg_lo:[0,1] neg_hi:[0,1]
	s_mov_b32 s15, 0x3f3d2fb0
	s_mov_b32 s6, 0xbf7ee86f
	;; [unrolled: 1-line block ×3, first 2 shown]
	v_mov_b32_e32 v41, v57
	v_mov_b32_e32 v57, v16
	v_pk_add_f32 v[86:87], v[38:39], v[32:33]
	v_pk_add_f32 v[72:73], v[32:33], v[38:39] neg_lo:[0,1] neg_hi:[0,1]
	s_mov_b32 s0, s15
	s_mov_b32 s1, s14
	;; [unrolled: 1-line block ×4, first 2 shown]
	v_mov_b32_e32 v40, v17
	v_pk_mul_f32 v[60:61], v[56:57], s[0:1]
	v_mov_b32_e32 v70, v86
	v_mov_b32_e32 v71, v72
	s_mov_b32 s38, s7
	s_mov_b32 s39, s6
	s_mov_b32 s0, s17
	s_mov_b32 s1, s16
	v_pk_fma_f32 v[58:59], v[40:41], s[14:15], v[60:61]
	v_pk_fma_f32 v[16:17], v[40:41], s[14:15], v[60:61] neg_lo:[0,0,1] neg_hi:[0,0,1]
	v_mov_b32_e32 v42, v73
	v_mov_b32_e32 v43, v87
	v_pk_mul_f32 v[66:67], v[70:71], s[38:39]
	v_pk_mul_f32 v[92:93], v[56:57], s[0:1]
	s_mov_b32 s0, 0xbf4c4adb
	v_pk_fma_f32 v[64:65], v[42:43], s[6:7], v[66:67]
	v_pk_fma_f32 v[18:19], v[42:43], s[6:7], v[66:67] neg_lo:[0,0,1] neg_hi:[0,0,1]
	v_mov_b32_e32 v16, v58
	s_mov_b32 s1, 0xbf1a4643
	v_pk_add_f32 v[16:17], v[16:17], v[0:1]
	v_mov_b32_e32 v18, v64
	s_mov_b32 s42, s1
	s_mov_b32 s43, s0
	v_pk_add_f32 v[16:17], v[18:19], v[16:17]
	v_pk_fma_f32 v[94:95], v[40:41], s[16:17], v[92:93]
	v_pk_fma_f32 v[18:19], v[40:41], s[16:17], v[92:93] neg_lo:[0,0,1] neg_hi:[0,0,1]
	v_pk_mul_f32 v[98:99], v[70:71], s[42:43]
	v_mov_b32_e32 v18, v94
	v_pk_fma_f32 v[96:97], v[42:43], s[0:1], v[98:99]
	v_pk_fma_f32 v[28:29], v[42:43], s[0:1], v[98:99] neg_lo:[0,0,1] neg_hi:[0,0,1]
	v_pk_add_f32 v[18:19], v[18:19], v[0:1]
	v_mov_b32_e32 v28, v96
	v_pk_add_f32 v[48:49], v[34:35], v[36:37] neg_lo:[0,1] neg_hi:[0,1]
	v_pk_add_f32 v[18:19], v[28:29], v[18:19]
	s_mov_b32 s48, s1
	v_pk_add_f32 v[46:47], v[36:37], v[34:35]
	v_pk_mul_f32 v[28:29], v[48:49], s[0:1] op_sel_hi:[1,0]
	s_mov_b32 s20, 0xbe3c28d5
	v_pk_fma_f32 v[76:77], v[46:47], s[48:49], v[28:29] op_sel:[0,0,1] op_sel_hi:[1,0,0]
	v_pk_fma_f32 v[78:79], v[46:47], s[48:49], v[28:29] op_sel:[0,0,1] op_sel_hi:[1,0,0] neg_lo:[0,0,1] neg_hi:[0,0,1]
	v_mov_b32_e32 v28, v76
	v_mov_b32_e32 v29, v79
	s_mov_b32 s21, 0xbf7ba420
	s_mov_b32 s18, 0x3e3c28d5
	v_pk_add_f32 v[16:17], v[28:29], v[16:17]
	s_mov_b32 s46, s21
	v_pk_mul_f32 v[28:29], v[48:49], s[18:19] op_sel_hi:[1,0]
	v_pk_add_f32 v[126:127], v[20:21], v[26:27] neg_lo:[0,1] neg_hi:[0,1]
	v_pk_fma_f32 v[108:109], v[46:47], s[46:47], v[28:29] op_sel:[0,0,1] op_sel_hi:[1,0,0]
	v_pk_fma_f32 v[74:75], v[46:47], s[46:47], v[28:29] op_sel:[0,0,1] op_sel_hi:[1,0,0] neg_lo:[0,0,1] neg_hi:[0,0,1]
	v_mov_b32_e32 v28, v108
	v_mov_b32_e32 v29, v75
	v_pk_add_f32 v[18:19], v[28:29], v[18:19]
	v_pk_add_f32 v[50:51], v[26:27], v[20:21]
	v_pk_mul_f32 v[28:29], v[126:127], s[20:21] op_sel:[1,0] op_sel_hi:[0,0]
	v_pk_fma_f32 v[100:101], v[50:51], s[46:47], v[28:29] op_sel_hi:[1,0,1]
	v_pk_fma_f32 v[102:103], v[50:51], s[46:47], v[28:29] op_sel_hi:[1,0,1] neg_lo:[0,0,1] neg_hi:[0,0,1]
	s_mov_b32 s22, 0xbf763a35
	v_mov_b32_e32 v28, v100
	v_mov_b32_e32 v29, v103
	s_mov_b32 s23, 0xbe8c1d8e
	s_mov_b32 s18, 0x3f763a35
	v_pk_add_f32 v[16:17], v[28:29], v[16:17]
	s_mov_b32 s50, s23
	v_pk_mul_f32 v[28:29], v[126:127], s[18:19] op_sel:[1,0] op_sel_hi:[0,0]
	v_pk_fma_f32 v[88:89], v[50:51], s[50:51], v[28:29] op_sel_hi:[1,0,1]
	v_pk_fma_f32 v[90:91], v[50:51], s[50:51], v[28:29] op_sel_hi:[1,0,1] neg_lo:[0,0,1] neg_hi:[0,0,1]
	s_mov_b32 s34, 0x3f06c442
	v_mov_b32_e32 v28, v88
	v_mov_b32_e32 v29, v91
	s_mov_b32 s35, 0xbf59a7d5
	v_pk_add_f32 v[128:129], v[22:23], v[24:25] neg_lo:[0,1] neg_hi:[0,1]
	v_pk_add_f32 v[18:19], v[28:29], v[18:19]
	s_mov_b32 s52, s35
	v_pk_add_f32 v[52:53], v[24:25], v[22:23]
	v_pk_mul_f32 v[28:29], v[128:129], s[34:35] op_sel:[1,0] op_sel_hi:[0,0]
	v_pk_fma_f32 v[110:111], v[52:53], s[52:53], v[28:29] op_sel_hi:[1,0,1]
	v_pk_fma_f32 v[112:113], v[52:53], s[52:53], v[28:29] op_sel_hi:[1,0,1] neg_lo:[0,0,1] neg_hi:[0,0,1]
	v_mov_b32_e32 v28, v110
	v_mov_b32_e32 v29, v113
	s_mov_b32 s26, 0x3f2c7751
	v_pk_add_f32 v[16:17], v[28:29], v[16:17]
	s_mov_b32 s56, s15
	v_pk_mul_f32 v[28:29], v[128:129], s[26:27] op_sel:[1,0] op_sel_hi:[0,0]
	v_pk_fma_f32 v[104:105], v[52:53], s[56:57], v[28:29] op_sel_hi:[1,0,1]
	v_pk_fma_f32 v[106:107], v[52:53], s[56:57], v[28:29] op_sel_hi:[1,0,1] neg_lo:[0,0,1] neg_hi:[0,0,1]
	v_mov_b32_e32 v28, v104
	v_mov_b32_e32 v29, v107
	v_pk_add_f32 v[130:131], v[8:9], v[14:15] neg_lo:[0,1] neg_hi:[0,1]
	v_pk_add_f32 v[18:19], v[28:29], v[18:19]
	v_pk_add_f32 v[54:55], v[14:15], v[8:9]
	v_pk_mul_f32 v[28:29], v[130:131], s[18:19] op_sel:[1,0] op_sel_hi:[0,0]
	v_pk_fma_f32 v[118:119], v[54:55], s[50:51], v[28:29] op_sel_hi:[1,0,1]
	v_pk_fma_f32 v[120:121], v[54:55], s[50:51], v[28:29] op_sel_hi:[1,0,1] neg_lo:[0,0,1] neg_hi:[0,0,1]
	s_mov_b32 s36, 0xbeb8f4ab
	v_mov_b32_e32 v28, v118
	v_mov_b32_e32 v29, v121
	s_mov_b32 s37, 0x3f6eb680
	v_pk_add_f32 v[16:17], v[28:29], v[16:17]
	s_mov_b32 s60, s37
	v_pk_mul_f32 v[28:29], v[130:131], s[36:37] op_sel:[1,0] op_sel_hi:[0,0]
	v_pk_fma_f32 v[114:115], v[54:55], s[60:61], v[28:29] op_sel_hi:[1,0,1]
	v_pk_fma_f32 v[116:117], v[54:55], s[60:61], v[28:29] op_sel_hi:[1,0,1] neg_lo:[0,0,1] neg_hi:[0,0,1]
	v_mov_b32_e32 v28, v114
	v_mov_b32_e32 v29, v117
	s_mov_b32 s24, 0x3f65296c
	v_pk_add_f32 v[152:153], v[10:11], v[12:13] neg_lo:[0,1] neg_hi:[0,1]
	v_pk_add_f32 v[18:19], v[28:29], v[18:19]
	s_mov_b32 s58, s17
	v_pk_add_f32 v[62:63], v[12:13], v[10:11]
	v_pk_mul_f32 v[28:29], v[152:153], s[24:25] op_sel:[1,0] op_sel_hi:[0,0]
	v_pk_fma_f32 v[134:135], v[62:63], s[58:59], v[28:29] op_sel_hi:[1,0,1]
	v_pk_fma_f32 v[136:137], v[62:63], s[58:59], v[28:29] op_sel_hi:[1,0,1] neg_lo:[0,0,1] neg_hi:[0,0,1]
	v_mov_b32_e32 v28, v134
	v_mov_b32_e32 v29, v137
	v_pk_add_f32 v[16:17], v[28:29], v[16:17]
	s_mov_b32 s62, s7
	v_pk_mul_f32 v[28:29], v[152:153], s[6:7] op_sel:[1,0] op_sel_hi:[0,0]
	v_pk_fma_f32 v[122:123], v[62:63], s[62:63], v[28:29] op_sel_hi:[1,0,1]
	v_pk_fma_f32 v[124:125], v[62:63], s[62:63], v[28:29] op_sel_hi:[1,0,1] neg_lo:[0,0,1] neg_hi:[0,0,1]
	v_mov_b32_e32 v28, v122
	v_mov_b32_e32 v29, v125
	s_mov_b32 s30, 0x3eb8f4ab
	v_pk_add_f32 v[156:157], v[4:5], v[6:7] neg_lo:[0,1] neg_hi:[0,1]
	v_pk_add_f32 v[28:29], v[28:29], v[18:19]
	v_pk_add_f32 v[68:69], v[6:7], v[4:5]
	v_pk_mul_f32 v[18:19], v[156:157], s[30:31] op_sel:[1,0] op_sel_hi:[0,0]
	v_pk_fma_f32 v[154:155], v[68:69], s[60:61], v[18:19] op_sel_hi:[1,0,1]
	v_pk_fma_f32 v[158:159], v[68:69], s[60:61], v[18:19] op_sel_hi:[1,0,1] neg_lo:[0,0,1] neg_hi:[0,0,1]
	s_mov_b32 s28, 0xbf06c442
	v_mov_b32_e32 v18, v154
	v_mov_b32_e32 v19, v159
	v_pk_add_f32 v[18:19], v[18:19], v[16:17]
	v_pk_mul_f32 v[16:17], v[156:157], s[28:29] op_sel:[1,0] op_sel_hi:[0,0]
	v_pk_fma_f32 v[144:145], v[68:69], s[52:53], v[16:17] op_sel_hi:[1,0,1]
	v_pk_fma_f32 v[146:147], v[68:69], s[52:53], v[16:17] op_sel_hi:[1,0,1] neg_lo:[0,0,1] neg_hi:[0,0,1]
	v_mov_b32_e32 v16, v144
	v_mov_b32_e32 v17, v147
	s_mov_b32 s54, s21
	s_mov_b32 s55, s20
	v_pk_mul_f32 v[194:195], v[56:57], s[38:39]
	v_pk_add_f32 v[16:17], v[16:17], v[28:29]
	v_pk_fma_f32 v[192:193], v[40:41], s[6:7], v[194:195]
	v_pk_fma_f32 v[28:29], v[40:41], s[6:7], v[194:195] neg_lo:[0,0,1] neg_hi:[0,0,1]
	v_pk_mul_f32 v[198:199], v[70:71], s[54:55]
	v_mov_b32_e32 v28, v192
	v_pk_fma_f32 v[196:197], v[42:43], s[20:21], v[198:199]
	v_pk_fma_f32 v[30:31], v[42:43], s[20:21], v[198:199] neg_lo:[0,0,1] neg_hi:[0,0,1]
	v_pk_add_f32 v[28:29], v[28:29], v[0:1]
	v_mov_b32_e32 v30, v196
	v_pk_add_f32 v[28:29], v[30:31], v[28:29]
	v_pk_mul_f32 v[30:31], v[48:49], s[18:19] op_sel_hi:[1,0]
	s_mov_b32 s38, s23
	v_pk_fma_f32 v[200:201], v[46:47], s[50:51], v[30:31] op_sel:[0,0,1] op_sel_hi:[1,0,0]
	v_pk_fma_f32 v[148:149], v[46:47], s[50:51], v[30:31] op_sel:[0,0,1] op_sel_hi:[1,0,0] neg_lo:[0,0,1] neg_hi:[0,0,1]
	s_mov_b32 s39, s22
	v_mov_b32_e32 v30, v200
	v_mov_b32_e32 v31, v149
	s_mov_b32 s40, s35
	s_mov_b32 s41, s34
	v_pk_mul_f32 v[216:217], v[56:57], s[38:39]
	v_pk_add_f32 v[28:29], v[30:31], v[28:29]
	v_pk_fma_f32 v[212:213], v[40:41], s[22:23], v[216:217]
	v_pk_fma_f32 v[30:31], v[40:41], s[22:23], v[216:217] neg_lo:[0,0,1] neg_hi:[0,0,1]
	v_pk_mul_f32 v[214:215], v[70:71], s[40:41]
	v_mov_b32_e32 v30, v212
	v_pk_fma_f32 v[206:207], v[42:43], s[34:35], v[214:215]
	v_pk_fma_f32 v[84:85], v[42:43], s[34:35], v[214:215] neg_lo:[0,0,1] neg_hi:[0,0,1]
	v_pk_add_f32 v[30:31], v[30:31], v[0:1]
	v_mov_b32_e32 v84, v206
	v_pk_add_f32 v[30:31], v[84:85], v[30:31]
	v_pk_mul_f32 v[84:85], v[48:49], s[26:27] op_sel_hi:[1,0]
	v_pk_mul_f32 v[132:133], v[130:131], s[28:29] op_sel:[1,0] op_sel_hi:[0,0]
	v_pk_fma_f32 v[204:205], v[46:47], s[56:57], v[84:85] op_sel:[0,0,1] op_sel_hi:[1,0,0]
	v_pk_fma_f32 v[150:151], v[46:47], s[56:57], v[84:85] op_sel:[0,0,1] op_sel_hi:[1,0,0] neg_lo:[0,0,1] neg_hi:[0,0,1]
	v_mov_b32_e32 v84, v204
	v_mov_b32_e32 v85, v151
	v_pk_add_f32 v[30:31], v[84:85], v[30:31]
	v_pk_mul_f32 v[84:85], v[126:127], s[30:31] op_sel:[1,0] op_sel_hi:[0,0]
	v_pk_fma_f32 v[202:203], v[50:51], s[60:61], v[84:85] op_sel_hi:[1,0,1]
	v_pk_fma_f32 v[164:165], v[50:51], s[60:61], v[84:85] op_sel_hi:[1,0,1] neg_lo:[0,0,1] neg_hi:[0,0,1]
	v_mov_b32_e32 v84, v202
	v_mov_b32_e32 v85, v165
	v_pk_add_f32 v[28:29], v[84:85], v[28:29]
	v_pk_mul_f32 v[84:85], v[126:127], s[16:17] op_sel:[1,0] op_sel_hi:[0,0]
	v_pk_fma_f32 v[218:219], v[50:51], s[58:59], v[84:85] op_sel_hi:[1,0,1]
	v_pk_fma_f32 v[160:161], v[50:51], s[58:59], v[84:85] op_sel_hi:[1,0,1] neg_lo:[0,0,1] neg_hi:[0,0,1]
	;; [unrolled: 6-line block ×4, first 2 shown]
	v_mov_b32_e32 v84, v224
	v_mov_b32_e32 v85, v163
	v_pk_add_f32 v[30:31], v[84:85], v[30:31]
	v_pk_fma_f32 v[84:85], v[54:55], s[52:53], v[132:133] op_sel_hi:[1,0,1]
	v_pk_fma_f32 v[174:175], v[54:55], s[52:53], v[132:133] op_sel_hi:[1,0,1] neg_lo:[0,0,1] neg_hi:[0,0,1]
	v_mov_b32_e32 v132, v84
	v_mov_b32_e32 v133, v175
	s_mov_b32 s40, 0x3f7ee86f
	v_pk_add_f32 v[28:29], v[132:133], v[28:29]
	v_pk_mul_f32 v[132:133], v[130:131], s[40:41] op_sel:[1,0] op_sel_hi:[0,0]
	v_pk_fma_f32 v[168:169], v[54:55], s[62:63], v[132:133] op_sel_hi:[1,0,1]
	v_pk_fma_f32 v[170:171], v[54:55], s[62:63], v[132:133] op_sel_hi:[1,0,1] neg_lo:[0,0,1] neg_hi:[0,0,1]
	v_mov_b32_e32 v132, v168
	v_mov_b32_e32 v133, v171
	s_mov_b32 s44, 0x3f4c4adb
	v_pk_add_f32 v[30:31], v[132:133], v[30:31]
	v_pk_mul_f32 v[132:133], v[152:153], s[44:45] op_sel:[1,0] op_sel_hi:[0,0]
	v_pk_fma_f32 v[184:185], v[62:63], s[48:49], v[132:133] op_sel_hi:[1,0,1]
	v_pk_fma_f32 v[186:187], v[62:63], s[48:49], v[132:133] op_sel_hi:[1,0,1] neg_lo:[0,0,1] neg_hi:[0,0,1]
	v_mov_b32_e32 v132, v184
	v_mov_b32_e32 v133, v187
	v_pk_add_f32 v[28:29], v[132:133], v[28:29]
	v_pk_mul_f32 v[132:133], v[152:153], s[36:37] op_sel:[1,0] op_sel_hi:[0,0]
	v_pk_fma_f32 v[178:179], v[62:63], s[60:61], v[132:133] op_sel_hi:[1,0,1]
	v_pk_fma_f32 v[180:181], v[62:63], s[60:61], v[132:133] op_sel_hi:[1,0,1] neg_lo:[0,0,1] neg_hi:[0,0,1]
	v_mov_b32_e32 v132, v178
	v_mov_b32_e32 v133, v181
	;; [unrolled: 6-line block ×4, first 2 shown]
	s_mov_b32 s38, s37
	s_mov_b32 s39, s36
	v_pk_add_f32 v[28:29], v[28:29], v[132:133]
	v_pk_mul_f32 v[132:133], v[72:73], s[14:15] op_sel:[1,0] op_sel_hi:[0,0]
	v_pk_mul_f32 v[248:249], v[56:57], s[38:39]
	v_pk_fma_f32 v[208:209], v[86:87], s[56:57], v[132:133] op_sel_hi:[1,0,1]
	v_pk_fma_f32 v[210:211], v[86:87], s[56:57], v[132:133] op_sel_hi:[1,0,1] neg_lo:[0,0,1] neg_hi:[0,0,1]
	v_pk_fma_f32 v[246:247], v[40:41], s[36:37], v[248:249]
	v_pk_fma_f32 v[86:87], v[40:41], s[36:37], v[248:249] neg_lo:[0,0,1] neg_hi:[0,0,1]
	v_mov_b32_e32 v132, v208
	v_mov_b32_e32 v86, v246
	v_pk_add_f32 v[86:87], v[86:87], v[0:1]
	v_mov_b32_e32 v133, v211
	v_pk_add_f32 v[86:87], v[132:133], v[86:87]
	v_pk_mul_f32 v[132:133], v[48:49], s[16:17] op_sel_hi:[1,0]
	v_mul_lo_u16_e32 v84, 17, v82
	v_pk_fma_f32 v[220:221], v[46:47], s[58:59], v[132:133] op_sel:[0,0,1] op_sel_hi:[1,0,0]
	v_pk_fma_f32 v[222:223], v[46:47], s[58:59], v[132:133] op_sel:[0,0,1] op_sel_hi:[1,0,0] neg_lo:[0,0,1] neg_hi:[0,0,1]
	v_mov_b32_e32 v132, v220
	v_mov_b32_e32 v133, v223
	v_pk_add_f32 v[86:87], v[132:133], v[86:87]
	v_pk_mul_f32 v[132:133], v[126:127], s[6:7] op_sel:[1,0] op_sel_hi:[0,0]
	v_pk_fma_f32 v[226:227], v[50:51], s[62:63], v[132:133] op_sel_hi:[1,0,1]
	v_pk_fma_f32 v[228:229], v[50:51], s[62:63], v[132:133] op_sel_hi:[1,0,1] neg_lo:[0,0,1] neg_hi:[0,0,1]
	v_mov_b32_e32 v132, v226
	v_mov_b32_e32 v133, v229
	v_pk_add_f32 v[86:87], v[132:133], v[86:87]
	v_pk_mul_f32 v[132:133], v[128:129], s[22:23] op_sel:[1,0] op_sel_hi:[0,0]
	v_pk_fma_f32 v[230:231], v[52:53], s[50:51], v[132:133] op_sel_hi:[1,0,1]
	v_pk_fma_f32 v[232:233], v[52:53], s[50:51], v[132:133] op_sel_hi:[1,0,1] neg_lo:[0,0,1] neg_hi:[0,0,1]
	;; [unrolled: 6-line block ×5, first 2 shown]
	v_mov_b32_e32 v132, v242
	v_mov_b32_e32 v133, v245
	v_pk_add_f32 v[252:253], v[132:133], v[86:87]
	s_barrier
	s_and_saveexec_b64 s[38:39], s[2:3]
	s_cbranch_execz .LBB0_7
; %bb.6:
	v_pk_add_f32 v[2:3], v[2:3], v[0:1]
	v_mov_b32_e32 v88, v250
	v_pk_add_f32 v[2:3], v[32:33], v[2:3]
	v_pk_mul_f32 v[250:251], v[40:41], s[36:37]
	v_pk_add_f32 v[2:3], v[34:35], v[2:3]
	v_pk_mul_f32 v[86:87], v[42:43], s[6:7]
	v_pk_add_f32 v[2:3], v[20:21], v[2:3]
	v_pk_add_f32 v[66:67], v[66:67], v[86:87] neg_lo:[0,1] neg_hi:[0,1]
	v_pk_add_f32 v[2:3], v[22:23], v[2:3]
	v_pk_add_f32 v[86:87], v[248:249], v[250:251] neg_lo:[0,1] neg_hi:[0,1]
	v_pk_add_f32 v[2:3], v[8:9], v[2:3]
	v_mov_b32_e32 v87, v247
	v_pk_add_f32 v[2:3], v[10:11], v[2:3]
	v_mov_b32_e32 v211, v209
	v_pk_add_f32 v[2:3], v[4:5], v[2:3]
	v_pk_add_f32 v[4:5], v[86:87], v[0:1]
	;; [unrolled: 1-line block ×5, first 2 shown]
	v_mov_b32_e32 v223, v221
	v_pk_add_f32 v[2:3], v[14:15], v[2:3]
	v_pk_add_f32 v[4:5], v[222:223], v[4:5]
	v_mov_b32_e32 v229, v227
	v_pk_add_f32 v[2:3], v[24:25], v[2:3]
	v_pk_add_f32 v[4:5], v[228:229], v[4:5]
	;; [unrolled: 3-line block ×3, first 2 shown]
	v_mov_b32_e32 v237, v235
	v_pk_mul_f32 v[254:255], v[40:41], s[14:15]
	v_mov_b32_e32 v79, v65
	v_pk_mul_f32 v[64:65], v[40:41], s[16:17]
	v_accvgpr_write_b32 a0, v252
	v_pk_add_f32 v[2:3], v[36:37], v[2:3]
	v_pk_add_f32 v[4:5], v[236:237], v[4:5]
	v_mov_b32_e32 v241, v239
	v_accvgpr_write_b32 a1, v253
	v_pk_mul_f32 v[252:253], v[42:43], s[0:1]
	v_pk_add_f32 v[64:65], v[92:93], v[64:65] neg_lo:[0,1] neg_hi:[0,1]
	v_pk_add_f32 v[60:61], v[60:61], v[254:255] neg_lo:[0,1] neg_hi:[0,1]
	v_pk_add_f32 v[2:3], v[38:39], v[2:3]
	v_pk_add_f32 v[4:5], v[240:241], v[4:5]
	v_mov_b32_e32 v245, v243
	v_mov_b32_e32 v65, v95
	v_pk_add_f32 v[92:93], v[98:99], v[252:253] neg_lo:[0,1] neg_hi:[0,1]
	v_mov_b32_e32 v61, v59
	v_lshlrev_b32_e32 v81, 3, v84
	v_pk_add_f32 v[2:3], v[44:45], v[2:3]
	v_pk_add_f32 v[4:5], v[244:245], v[4:5]
	v_mov_b32_e32 v91, v77
	v_mov_b32_e32 v93, v97
	v_mov_b32_e32 v67, v79
	ds_write2_b64 v81, v[2:3], v[4:5] offset1:1
	v_pk_add_f32 v[2:3], v[60:61], v[0:1]
	v_pk_add_f32 v[4:5], v[64:65], v[0:1]
	v_mov_b32_e32 v75, v109
	v_pk_add_f32 v[2:3], v[66:67], v[2:3]
	v_mov_b32_e32 v79, v91
	;; [unrolled: 2-line block ×3, first 2 shown]
	v_mov_b32_e32 v143, v126
	v_pk_mul_f32 v[126:127], v[40:41], s[22:23]
	v_pk_add_f32 v[2:3], v[78:79], v[2:3]
	v_mov_b32_e32 v103, v101
	v_pk_add_f32 v[4:5], v[74:75], v[4:5]
	v_mov_b32_e32 v91, v89
	v_pk_add_f32 v[216:217], v[216:217], v[126:127] neg_lo:[0,1] neg_hi:[0,1]
	v_pk_mul_f32 v[126:127], v[42:43], s[34:35]
	s_mov_b32 s46, s35
	s_mov_b32 s47, s28
	v_pk_add_f32 v[2:3], v[102:103], v[2:3]
	v_mov_b32_e32 v113, v111
	v_pk_add_f32 v[4:5], v[90:91], v[4:5]
	v_mov_b32_e32 v107, v105
	v_mov_b32_e32 v217, v213
	v_pk_add_f32 v[212:213], v[214:215], v[126:127] neg_lo:[0,1] neg_hi:[0,1]
	v_pk_mul_f32 v[126:127], v[56:57], s[46:47]
	s_mov_b32 s46, s17
	s_mov_b32 s47, s24
	v_pk_add_f32 v[2:3], v[112:113], v[2:3]
	v_mov_b32_e32 v121, v119
	v_pk_add_f32 v[4:5], v[106:107], v[4:5]
	v_mov_b32_e32 v117, v115
	v_mov_b32_e32 v140, v129
	;; [unrolled: 1-line block ×3, first 2 shown]
	v_pk_mul_f32 v[76:77], v[40:41], s[6:7]
	v_mov_b32_e32 v58, v73
	v_pk_mul_f32 v[128:129], v[70:71], s[46:47]
	s_mov_b32 s46, s37
	s_mov_b32 s47, s30
	v_pk_mul_f32 v[72:73], v[56:57], s[42:43]
	s_mov_b32 s42, s23
	s_mov_b32 s43, s18
	v_pk_add_f32 v[2:3], v[120:121], v[2:3]
	v_mov_b32_e32 v137, v135
	v_pk_add_f32 v[4:5], v[116:117], v[4:5]
	v_mov_b32_e32 v125, v123
	v_mov_b32_e32 v138, v131
	;; [unrolled: 1-line block ×7, first 2 shown]
	v_pk_mul_f32 v[214:215], v[42:43], s[20:21]
	v_pk_mul_f32 v[152:153], v[56:57], s[54:55]
	;; [unrolled: 1-line block ×4, first 2 shown]
	v_pk_add_f32 v[70:71], v[194:195], v[76:77] neg_lo:[0,1] neg_hi:[0,1]
	v_pk_add_f32 v[2:3], v[136:137], v[2:3]
	v_mov_b32_e32 v159, v155
	v_pk_add_f32 v[4:5], v[124:125], v[4:5]
	v_mov_b32_e32 v147, v145
	v_mov_b32_e32 v71, v193
	v_pk_add_f32 v[76:77], v[198:199], v[214:215] neg_lo:[0,1] neg_hi:[0,1]
	v_pk_add_f32 v[2:3], v[158:159], v[2:3]
	v_pk_add_f32 v[4:5], v[146:147], v[4:5]
	v_mov_b32_e32 v213, v207
	v_mov_b32_e32 v77, v197
	ds_write2_b64 v81, v[2:3], v[4:5] offset0:2 offset1:3
	v_pk_add_f32 v[2:3], v[70:71], v[0:1]
	v_pk_add_f32 v[4:5], v[216:217], v[0:1]
	v_mov_b32_e32 v151, v205
	v_mov_b32_e32 v149, v201
	v_pk_add_f32 v[2:3], v[76:77], v[2:3]
	v_pk_add_f32 v[4:5], v[212:213], v[4:5]
	v_mov_b32_e32 v161, v219
	v_mov_b32_e32 v165, v203
	v_pk_add_f32 v[2:3], v[148:149], v[2:3]
	v_pk_add_f32 v[4:5], v[150:151], v[4:5]
	v_mov_b32_e32 v163, v225
	v_pk_add_f32 v[2:3], v[164:165], v[2:3]
	v_mov_b32_e32 v173, v167
	v_pk_add_f32 v[4:5], v[160:161], v[4:5]
	v_pk_add_f32 v[2:3], v[172:173], v[2:3]
	v_mov_b32_e32 v175, v85
	v_pk_add_f32 v[4:5], v[162:163], v[4:5]
	v_mov_b32_e32 v171, v169
	;; [unrolled: 2-line block ×6, first 2 shown]
	v_pk_add_f32 v[2:3], v[190:191], v[2:3]
	v_pk_add_f32 v[4:5], v[182:183], v[4:5]
	s_mov_b32 s19, s23
	ds_write2_b64 v81, v[2:3], v[4:5] offset0:4 offset1:5
	v_pk_fma_f32 v[2:3], v[40:41], s[0:1], v[72:73] neg_lo:[1,0,0] neg_hi:[1,0,0]
	v_pk_fma_f32 v[4:5], v[40:41], s[0:1], v[72:73]
	v_pk_fma_f32 v[6:7], v[58:59], s[18:19], v[56:57] neg_lo:[1,0,0] neg_hi:[1,0,0]
	v_mov_b32_e32 v3, v5
	v_pk_fma_f32 v[8:9], v[42:43], s[18:19], v[56:57]
	v_pk_add_f32 v[2:3], v[2:3], v[0:1]
	v_mov_b32_e32 v7, v9
	v_pk_add_f32 v[2:3], v[6:7], v[2:3]
	v_pk_mul_f32 v[6:7], v[48:49], s[36:37] op_sel_hi:[1,0]
	s_mov_b32 s29, s35
	v_pk_fma_f32 v[10:11], v[46:47], s[46:47], v[6:7] op_sel:[0,0,1] op_sel_hi:[1,0,0] neg_lo:[0,0,1] neg_hi:[0,0,1]
	v_pk_fma_f32 v[6:7], v[46:47], s[46:47], v[6:7] op_sel:[0,0,1] op_sel_hi:[1,0,0]
	v_mov_b32_e32 v12, v10
	v_mov_b32_e32 v13, v7
	v_pk_add_f32 v[2:3], v[12:13], v[2:3]
	s_mov_b32 s34, s35
	v_pk_mul_f32 v[12:13], v[142:143], s[28:29] op_sel_hi:[1,0]
	s_mov_b32 s16, s7
	v_pk_fma_f32 v[14:15], v[50:51], s[34:35], v[12:13] op_sel_hi:[1,0,1] neg_lo:[0,0,1] neg_hi:[0,0,1]
	v_pk_fma_f32 v[12:13], v[50:51], s[34:35], v[12:13] op_sel_hi:[1,0,1]
	v_mov_b32_e32 v20, v14
	v_mov_b32_e32 v21, v13
	v_pk_add_f32 v[2:3], v[20:21], v[2:3]
	v_pk_mul_f32 v[20:21], v[140:141], s[40:41] op_sel_hi:[1,0]
	s_mov_b32 s42, s15
	v_pk_fma_f32 v[22:23], v[52:53], s[16:17], v[20:21] op_sel_hi:[1,0,1] neg_lo:[0,0,1] neg_hi:[0,0,1]
	v_pk_fma_f32 v[20:21], v[52:53], s[16:17], v[20:21] op_sel_hi:[1,0,1]
	v_mov_b32_e32 v24, v22
	v_mov_b32_e32 v25, v21
	v_pk_add_f32 v[2:3], v[24:25], v[2:3]
	;; [unrolled: 7-line block ×4, first 2 shown]
	s_mov_b32 s14, s17
	v_pk_mul_f32 v[36:37], v[130:131], s[24:25] op_sel_hi:[1,0]
	v_pk_fma_f32 v[76:77], v[40:41], s[28:29], v[126:127] neg_lo:[1,0,0] neg_hi:[1,0,0]
	v_pk_fma_f32 v[38:39], v[68:69], s[14:15], v[36:37] op_sel_hi:[1,0,1] neg_lo:[0,0,1] neg_hi:[0,0,1]
	v_pk_fma_f32 v[36:37], v[68:69], s[14:15], v[36:37] op_sel_hi:[1,0,1]
	v_pk_fma_f32 v[78:79], v[40:41], s[28:29], v[126:127]
	v_mov_b32_e32 v250, v88
	v_mov_b32_e32 v44, v38
	;; [unrolled: 1-line block ×4, first 2 shown]
	v_pk_fma_f32 v[86:87], v[58:59], s[24:25], v[128:129] neg_lo:[1,0,0] neg_hi:[1,0,0]
	v_pk_fma_f32 v[88:89], v[42:43], s[24:25], v[128:129]
	v_pk_add_f32 v[2:3], v[44:45], v[2:3]
	v_pk_mul_f32 v[44:45], v[48:49], s[6:7] op_sel_hi:[1,0]
	v_pk_add_f32 v[76:77], v[76:77], v[0:1]
	v_mov_b32_e32 v87, v89
	v_pk_add_f32 v[76:77], v[86:87], v[76:77]
	v_pk_fma_f32 v[86:87], v[46:47], s[16:17], v[44:45] op_sel:[0,0,1] op_sel_hi:[1,0,0] neg_lo:[0,0,1] neg_hi:[0,0,1]
	v_pk_fma_f32 v[44:45], v[46:47], s[16:17], v[44:45] op_sel:[0,0,1] op_sel_hi:[1,0,0]
	s_mov_b32 s6, s1
	v_pk_mul_f32 v[60:61], v[142:143], s[44:45] op_sel_hi:[1,0]
	v_mov_b32_e32 v90, v86
	v_mov_b32_e32 v91, v45
	v_pk_add_f32 v[76:77], v[90:91], v[76:77]
	v_pk_fma_f32 v[90:91], v[50:51], s[6:7], v[60:61] op_sel_hi:[1,0,1] neg_lo:[0,0,1] neg_hi:[0,0,1]
	v_pk_fma_f32 v[60:61], v[50:51], s[6:7], v[60:61] op_sel_hi:[1,0,1]
	v_pk_mul_f32 v[64:65], v[140:141], s[36:37] op_sel_hi:[1,0]
	v_mov_b32_e32 v92, v90
	v_mov_b32_e32 v93, v61
	v_pk_add_f32 v[76:77], v[92:93], v[76:77]
	v_pk_fma_f32 v[92:93], v[52:53], s[46:47], v[64:65] op_sel_hi:[1,0,1] neg_lo:[0,0,1] neg_hi:[0,0,1]
	v_pk_fma_f32 v[64:65], v[52:53], s[46:47], v[64:65] op_sel_hi:[1,0,1]
	;; [unrolled: 6-line block ×4, first 2 shown]
	s_mov_b32 s36, s23
	v_pk_mul_f32 v[74:75], v[130:131], s[22:23] op_sel_hi:[1,0]
	v_mov_b32_e32 v98, v96
	v_mov_b32_e32 v99, v71
	v_pk_add_f32 v[76:77], v[98:99], v[76:77]
	v_pk_fma_f32 v[98:99], v[68:69], s[36:37], v[74:75] op_sel_hi:[1,0,1] neg_lo:[0,0,1] neg_hi:[0,0,1]
	v_pk_fma_f32 v[74:75], v[68:69], s[36:37], v[74:75] op_sel_hi:[1,0,1]
	v_mov_b32_e32 v100, v98
	v_mov_b32_e32 v101, v75
	v_pk_add_f32 v[76:77], v[100:101], v[76:77]
	s_mov_b32 s31, s37
	ds_write2_b64 v81, v[2:3], v[76:77] offset0:6 offset1:7
	v_pk_fma_f32 v[2:3], v[40:41], s[20:21], v[152:153] neg_lo:[1,0,0] neg_hi:[1,0,0]
	v_pk_fma_f32 v[76:77], v[40:41], s[20:21], v[152:153]
	v_pk_fma_f32 v[58:59], v[58:59], s[30:31], v[156:157] neg_lo:[1,0,0] neg_hi:[1,0,0]
	v_mov_b32_e32 v3, v77
	v_pk_fma_f32 v[100:101], v[42:43], s[30:31], v[156:157]
	v_pk_add_f32 v[2:3], v[2:3], v[0:1]
	v_mov_b32_e32 v59, v101
	v_pk_mul_f32 v[48:49], v[48:49], s[28:29] op_sel_hi:[1,0]
	v_pk_add_f32 v[2:3], v[58:59], v[2:3]
	v_pk_fma_f32 v[58:59], v[46:47], s[34:35], v[48:49] op_sel:[0,0,1] op_sel_hi:[1,0,0] neg_lo:[0,0,1] neg_hi:[0,0,1]
	v_pk_fma_f32 v[46:47], v[46:47], s[34:35], v[48:49] op_sel:[0,0,1] op_sel_hi:[1,0,0]
	v_mov_b32_e32 v48, v58
	v_mov_b32_e32 v49, v47
	v_pk_add_f32 v[2:3], v[48:49], v[2:3]
	v_pk_mul_f32 v[48:49], v[142:143], s[26:27] op_sel_hi:[1,0]
	v_mov_b32_e32 v47, v59
	v_pk_fma_f32 v[102:103], v[50:51], s[42:43], v[48:49] op_sel_hi:[1,0,1] neg_lo:[0,0,1] neg_hi:[0,0,1]
	v_pk_fma_f32 v[48:49], v[50:51], s[42:43], v[48:49] op_sel_hi:[1,0,1]
	v_mov_b32_e32 v50, v102
	v_mov_b32_e32 v51, v49
	v_pk_add_f32 v[2:3], v[50:51], v[2:3]
	v_pk_mul_f32 v[50:51], v[140:141], s[0:1] op_sel_hi:[1,0]
	v_mov_b32_e32 v49, v103
	v_pk_fma_f32 v[104:105], v[52:53], s[6:7], v[50:51] op_sel_hi:[1,0,1] neg_lo:[0,0,1] neg_hi:[0,0,1]
	v_pk_fma_f32 v[50:51], v[52:53], s[6:7], v[50:51] op_sel_hi:[1,0,1]
	;; [unrolled: 7-line block ×5, first 2 shown]
	v_mov_b32_e32 v68, v110
	v_mov_b32_e32 v69, v63
	v_pk_add_f32 v[2:3], v[68:69], v[2:3]
	v_pk_fma_f32 v[68:69], v[40:41], s[20:21], v[152:153] neg_lo:[0,0,1] neg_hi:[0,0,1]
	v_mov_b32_e32 v63, v111
	v_mov_b32_e32 v77, v69
	v_pk_add_f32 v[68:69], v[76:77], v[0:1]
	v_pk_fma_f32 v[76:77], v[42:43], s[30:31], v[156:157] neg_lo:[0,0,1] neg_hi:[0,0,1]
	v_mov_b32_e32 v45, v87
	v_mov_b32_e32 v101, v77
	v_pk_add_f32 v[68:69], v[100:101], v[68:69]
	v_mov_b32_e32 v7, v11
	v_pk_add_f32 v[46:47], v[46:47], v[68:69]
	v_mov_b32_e32 v61, v91
	v_pk_add_f32 v[46:47], v[48:49], v[46:47]
	v_mov_b32_e32 v13, v15
	v_pk_add_f32 v[46:47], v[50:51], v[46:47]
	v_mov_b32_e32 v65, v93
	v_pk_add_f32 v[46:47], v[52:53], v[46:47]
	v_mov_b32_e32 v21, v23
	v_pk_add_f32 v[46:47], v[54:55], v[46:47]
	v_mov_b32_e32 v67, v95
	v_pk_add_f32 v[46:47], v[62:63], v[46:47]
	ds_write2_b64 v81, v[2:3], v[46:47] offset0:8 offset1:9
	v_pk_fma_f32 v[2:3], v[40:41], s[28:29], v[126:127] neg_lo:[0,0,1] neg_hi:[0,0,1]
	v_pk_fma_f32 v[40:41], v[40:41], s[0:1], v[72:73] neg_lo:[0,0,1] neg_hi:[0,0,1]
	v_mov_b32_e32 v79, v3
	v_mov_b32_e32 v5, v41
	v_pk_add_f32 v[2:3], v[78:79], v[0:1]
	v_pk_fma_f32 v[46:47], v[42:43], s[24:25], v[128:129] neg_lo:[0,0,1] neg_hi:[0,0,1]
	v_pk_add_f32 v[0:1], v[4:5], v[0:1]
	v_pk_fma_f32 v[4:5], v[42:43], s[18:19], v[56:57] neg_lo:[0,0,1] neg_hi:[0,0,1]
	v_mov_b32_e32 v89, v47
	v_mov_b32_e32 v9, v5
	v_pk_add_f32 v[2:3], v[88:89], v[2:3]
	v_pk_add_f32 v[0:1], v[8:9], v[0:1]
	;; [unrolled: 1-line block ×8, first 2 shown]
	v_mov_b32_e32 v25, v27
	v_pk_add_f32 v[2:3], v[66:67], v[2:3]
	v_mov_b32_e32 v71, v97
	v_pk_add_f32 v[0:1], v[24:25], v[0:1]
	v_mov_b32_e32 v33, v35
	v_accvgpr_read_b32 v253, a1
	v_pk_add_f32 v[2:3], v[70:71], v[2:3]
	v_mov_b32_e32 v75, v99
	v_pk_add_f32 v[0:1], v[32:33], v[0:1]
	v_mov_b32_e32 v37, v39
	v_accvgpr_read_b32 v252, a0
	v_pk_add_f32 v[2:3], v[74:75], v[2:3]
	v_pk_add_f32 v[0:1], v[36:37], v[0:1]
	ds_write2_b64 v81, v[2:3], v[0:1] offset0:10 offset1:11
	ds_write2_b64 v81, v[28:29], v[30:31] offset0:12 offset1:13
	;; [unrolled: 1-line block ×3, first 2 shown]
	ds_write_b64 v81, a[0:1] offset:128
.LBB0_7:
	s_or_b64 exec, exec, s[38:39]
	v_add_u32_e32 v86, 0x132, v82
	s_mov_b32 s14, 0xf0f1
	v_add_u32_e32 v87, 0x1cb, v82
	v_mul_u32_u24_sdwa v0, v86, s14 dst_sel:DWORD dst_unused:UNUSED_PAD src0_sel:WORD_0 src1_sel:DWORD
	v_lshrrev_b32_e32 v50, 20, v0
	v_mul_u32_u24_sdwa v1, v87, s14 dst_sel:DWORD dst_unused:UNUSED_PAD src0_sel:WORD_0 src1_sel:DWORD
	v_mul_lo_u16_e32 v0, 17, v50
	v_lshrrev_b32_e32 v52, 20, v1
	v_sub_u16_e32 v51, v86, v0
	v_mul_lo_u16_e32 v1, 17, v52
	v_lshlrev_b16_e32 v0, 1, v51
	v_sub_u16_e32 v53, v87, v1
	s_mov_b64 s[0:1], 0x99
	v_lshlrev_b32_e32 v0, 3, v0
	v_lshlrev_b16_e32 v1, 1, v53
	v_lshl_add_u64 v[48:49], v[82:83], 0, s[0:1]
	s_load_dwordx4 s[4:7], s[4:5], 0x0
	s_waitcnt lgkmcnt(0)
	s_barrier
	v_lshlrev_b32_e32 v1, 3, v1
	global_load_dwordx4 v[8:11], v0, s[10:11]
	global_load_dwordx4 v[12:15], v1, s[10:11]
	v_mul_u32_u24_sdwa v0, v48, s14 dst_sel:DWORD dst_unused:UNUSED_PAD src0_sel:WORD_0 src1_sel:DWORD
	v_lshrrev_b32_e32 v49, 20, v0
	v_mul_lo_u16_e32 v0, 17, v49
	v_sub_u16_e32 v54, v48, v0
	v_lshlrev_b16_e32 v0, 1, v54
	v_lshlrev_b32_e32 v0, 3, v0
	global_load_dwordx4 v[4:7], v0, s[10:11]
	s_movk_i32 s0, 0xf1
	v_mul_lo_u16_sdwa v0, v82, s0 dst_sel:DWORD dst_unused:UNUSED_PAD src0_sel:BYTE_0 src1_sel:DWORD
	v_lshrrev_b16_e32 v24, 12, v0
	v_mul_lo_u16_e32 v0, 17, v24
	v_sub_u16_e32 v0, v82, v0
	v_and_b32_e32 v55, 0xff, v0
	v_lshlrev_b32_e32 v0, 4, v55
	global_load_dwordx4 v[0:3], v0, s[10:11]
	v_mov_b32_e32 v20, 3
	v_lshlrev_b32_sdwa v83, v20, v82 dst_sel:DWORD dst_unused:UNUSED_PAD src0_sel:DWORD src1_sel:WORD_0
	v_add_u32_e32 v104, 0x800, v83
	v_add_u32_e32 v85, 0x1c00, v83
	;; [unrolled: 1-line block ×3, first 2 shown]
	ds_read2_b64 v[20:23], v83 offset1:153
	v_add_u32_e32 v105, 0x1000, v83
	v_add_u32_e32 v106, 0x2400, v83
	v_mul_u32_u24_e32 v56, 51, v24
	ds_read2_b64 v[24:27], v104 offset0:50 offset1:203
	ds_read2_b64 v[32:35], v85 offset0:22 offset1:175
	;; [unrolled: 1-line block ×5, first 2 shown]
	v_mad_legacy_u16 v50, v50, 51, v51
	v_mad_legacy_u16 v51, v52, 51, v53
	v_add_lshl_u32 v163, v56, v55, 3
	v_mad_legacy_u16 v49, v49, 51, v54
	v_lshlrev_b32_e32 v161, 3, v50
	v_lshlrev_b32_e32 v160, 3, v51
	s_mov_b32 s0, 0x3f5db3d7
	s_waitcnt lgkmcnt(0)
	s_barrier
	v_lshlrev_b32_e32 v162, 3, v49
	v_mov_b32_e32 v103, 0
	v_add_u32_e32 v89, 0x2fd, v82
	v_add_u32_e32 v88, 0x264, v82
	s_mov_b32 s14, 0.5
	s_mov_b32 s15, s0
	s_waitcnt vmcnt(3)
	v_pk_mul_f32 v[54:55], v[32:33], v[8:9] op_sel:[0,1]
	s_waitcnt vmcnt(2)
	v_pk_mul_f32 v[50:51], v[34:35], v[12:13] op_sel:[0,1]
	v_mov_b32_e32 v52, v15
	v_mov_b32_e32 v56, v11
	v_pk_fma_f32 v[58:59], v[34:35], v[12:13], v[50:51] op_sel:[0,0,1] op_sel_hi:[1,1,0] neg_lo:[0,0,1] neg_hi:[0,0,1]
	v_pk_fma_f32 v[34:35], v[34:35], v[12:13], v[50:51] op_sel:[0,0,1] op_sel_hi:[1,0,0]
	v_pk_mul_f32 v[50:51], v[38:39], v[52:53] op_sel_hi:[1,0]
	v_pk_fma_f32 v[52:53], v[32:33], v[8:9], v[54:55] op_sel:[0,0,1] op_sel_hi:[1,1,0] neg_lo:[0,0,1] neg_hi:[0,0,1]
	v_pk_fma_f32 v[32:33], v[32:33], v[8:9], v[54:55] op_sel:[0,0,1] op_sel_hi:[1,0,0]
	v_pk_mul_f32 v[54:55], v[36:37], v[56:57] op_sel_hi:[1,0]
	s_waitcnt vmcnt(1)
	v_pk_mul_f32 v[56:57], v[42:43], v[4:5] op_sel:[0,1]
	v_mov_b32_e32 v59, v35
	v_pk_fma_f32 v[34:35], v[38:39], v[14:15], v[50:51] op_sel:[0,0,1] op_sel_hi:[1,1,0] neg_lo:[0,0,1] neg_hi:[0,0,1]
	v_pk_fma_f32 v[38:39], v[38:39], v[14:15], v[50:51] op_sel:[0,0,1] op_sel_hi:[1,0,0]
	v_mov_b32_e32 v53, v33
	v_pk_fma_f32 v[32:33], v[36:37], v[10:11], v[54:55] op_sel:[0,0,1] op_sel_hi:[1,1,0] neg_lo:[0,0,1] neg_hi:[0,0,1]
	v_pk_fma_f32 v[36:37], v[36:37], v[10:11], v[54:55] op_sel:[0,0,1] op_sel_hi:[1,0,0]
	v_pk_fma_f32 v[50:51], v[42:43], v[4:5], v[56:57] op_sel:[0,0,1] op_sel_hi:[1,1,0] neg_lo:[0,0,1] neg_hi:[0,0,1]
	v_pk_fma_f32 v[42:43], v[42:43], v[4:5], v[56:57] op_sel:[0,0,1] op_sel_hi:[1,0,0]
	v_mov_b32_e32 v35, v39
	v_mov_b32_e32 v33, v37
	v_pk_add_f32 v[36:37], v[58:59], v[34:35]
	v_pk_add_f32 v[38:39], v[58:59], v[34:35] neg_lo:[0,1] neg_hi:[0,1]
	v_pk_add_f32 v[54:55], v[52:53], v[32:33]
	v_pk_add_f32 v[56:57], v[52:53], v[32:33] neg_lo:[0,1] neg_hi:[0,1]
	v_mov_b32_e32 v42, v7
	v_pk_fma_f32 v[36:37], v[36:37], 0.5, v[26:27] op_sel_hi:[1,0,1] neg_lo:[1,0,0] neg_hi:[1,0,0]
	v_pk_mul_f32 v[38:39], v[38:39], s[0:1] op_sel_hi:[1,0]
	v_pk_fma_f32 v[54:55], v[54:55], 0.5, v[24:25] op_sel_hi:[1,0,1] neg_lo:[1,0,0] neg_hi:[1,0,0]
	v_pk_mul_f32 v[56:57], v[56:57], s[0:1] op_sel_hi:[1,0]
	v_mov_b32_e32 v51, v43
	v_pk_mul_f32 v[42:43], v[46:47], v[42:43] op_sel_hi:[1,0]
	v_pk_add_f32 v[60:61], v[36:37], v[38:39] op_sel:[0,1] op_sel_hi:[1,0] neg_lo:[0,1] neg_hi:[0,1]
	v_pk_add_f32 v[36:37], v[36:37], v[38:39] op_sel:[0,1] op_sel_hi:[1,0]
	v_pk_add_f32 v[38:39], v[54:55], v[56:57] op_sel:[0,1] op_sel_hi:[1,0] neg_lo:[0,1] neg_hi:[0,1]
	v_pk_add_f32 v[54:55], v[54:55], v[56:57] op_sel:[0,1] op_sel_hi:[1,0]
	v_pk_fma_f32 v[56:57], v[46:47], v[6:7], v[42:43] op_sel:[0,0,1] op_sel_hi:[1,1,0] neg_lo:[0,0,1] neg_hi:[0,0,1]
	v_pk_fma_f32 v[42:43], v[46:47], v[6:7], v[42:43] op_sel:[0,0,1] op_sel_hi:[1,0,0]
	s_nop 0
	v_mov_b32_e32 v57, v43
	v_pk_add_f32 v[42:43], v[50:51], v[56:57]
	v_pk_add_f32 v[46:47], v[50:51], v[56:57] neg_lo:[0,1] neg_hi:[0,1]
	v_pk_fma_f32 v[42:43], v[42:43], 0.5, v[22:23] op_sel_hi:[1,0,1] neg_lo:[1,0,0] neg_hi:[1,0,0]
	v_pk_mul_f32 v[46:47], v[46:47], s[0:1] op_sel_hi:[1,0]
	s_nop 0
	v_pk_add_f32 v[62:63], v[42:43], v[46:47] op_sel:[0,1] op_sel_hi:[1,0] neg_lo:[0,1] neg_hi:[0,1]
	v_pk_add_f32 v[42:43], v[42:43], v[46:47] op_sel:[0,1] op_sel_hi:[1,0]
	s_waitcnt vmcnt(0)
	v_pk_mul_f32 v[46:47], v[40:41], v[0:1] op_sel:[0,1]
	s_nop 0
	v_pk_fma_f32 v[64:65], v[40:41], v[0:1], v[46:47] op_sel:[0,0,1] op_sel_hi:[1,1,0] neg_lo:[0,0,1] neg_hi:[0,0,1]
	v_pk_fma_f32 v[40:41], v[40:41], v[0:1], v[46:47] op_sel:[0,0,1] op_sel_hi:[1,0,0]
	s_nop 0
	v_mov_b32_e32 v40, v3
	v_mov_b32_e32 v65, v41
	v_pk_mul_f32 v[40:41], v[44:45], v[40:41] op_sel_hi:[1,0]
	s_nop 0
	v_pk_fma_f32 v[46:47], v[44:45], v[2:3], v[40:41] op_sel:[0,0,1] op_sel_hi:[1,1,0] neg_lo:[0,0,1] neg_hi:[0,0,1]
	v_pk_fma_f32 v[40:41], v[44:45], v[2:3], v[40:41] op_sel:[0,0,1] op_sel_hi:[1,0,0]
	s_nop 0
	v_mov_b32_e32 v47, v41
	v_pk_add_f32 v[44:45], v[64:65], v[46:47]
	v_pk_add_f32 v[40:41], v[20:21], v[64:65]
	v_pk_fma_f32 v[20:21], v[44:45], 0.5, v[20:21] op_sel_hi:[1,0,1] neg_lo:[1,0,0] neg_hi:[1,0,0]
	v_pk_add_f32 v[44:45], v[64:65], v[46:47] neg_lo:[0,1] neg_hi:[0,1]
	v_pk_add_f32 v[40:41], v[40:41], v[46:47]
	v_pk_mul_f32 v[44:45], v[44:45], s[0:1] op_sel_hi:[1,0]
	s_mov_b32 s1, 0xa0a1
	v_pk_add_f32 v[46:47], v[20:21], v[44:45] op_sel:[0,1] op_sel_hi:[1,0]
	v_pk_add_f32 v[20:21], v[20:21], v[44:45] op_sel:[0,1] op_sel_hi:[1,0] neg_lo:[0,1] neg_hi:[0,1]
	v_mov_b32_e32 v44, v46
	v_mov_b32_e32 v45, v21
	;; [unrolled: 1-line block ×3, first 2 shown]
	ds_write_b64 v163, v[20:21] offset:272
	v_pk_add_f32 v[20:21], v[22:23], v[50:51]
	v_mov_b32_e32 v22, v42
	v_pk_add_f32 v[20:21], v[20:21], v[56:57]
	v_mov_b32_e32 v23, v63
	ds_write2_b64 v163, v[40:41], v[44:45] offset1:17
	ds_write2_b64 v162, v[20:21], v[22:23] offset1:17
	v_pk_add_f32 v[20:21], v[24:25], v[52:53]
	v_mov_b32_e32 v63, v43
	v_pk_add_f32 v[20:21], v[20:21], v[32:33]
	v_mov_b32_e32 v22, v54
	v_mov_b32_e32 v23, v39
	ds_write_b64 v162, v[62:63] offset:272
	ds_write2_b64 v161, v[20:21], v[22:23] offset1:17
	v_pk_add_f32 v[20:21], v[26:27], v[58:59]
	v_mov_b32_e32 v39, v55
	v_pk_add_f32 v[20:21], v[20:21], v[34:35]
	v_mov_b32_e32 v22, v36
	v_mov_b32_e32 v23, v61
	ds_write_b64 v161, v[38:39] offset:272
	ds_write2_b64 v160, v[20:21], v[22:23] offset1:17
	v_mul_u32_u24_sdwa v20, v48, s1 dst_sel:DWORD dst_unused:UNUSED_PAD src0_sel:WORD_0 src1_sel:DWORD
	v_lshrrev_b32_e32 v42, 21, v20
	v_mul_u32_u24_sdwa v22, v86, s1 dst_sel:DWORD dst_unused:UNUSED_PAD src0_sel:WORD_0 src1_sel:DWORD
	v_mul_lo_u16_e32 v20, 51, v42
	v_lshrrev_b32_e32 v44, 21, v22
	v_mul_u32_u24_sdwa v24, v87, s1 dst_sel:DWORD dst_unused:UNUSED_PAD src0_sel:WORD_0 src1_sel:DWORD
	v_sub_u16_e32 v43, v48, v20
	v_mul_lo_u16_e32 v22, 51, v44
	v_lshrrev_b32_e32 v46, 21, v24
	v_lshlrev_b16_e32 v102, 4, v43
	v_sub_u16_e32 v45, v86, v22
	v_mul_lo_u16_e32 v24, 51, v46
	v_lshl_add_u64 v[20:21], s[10:11], 0, v[102:103]
	v_lshlrev_b16_e32 v102, 4, v45
	v_sub_u16_e32 v47, v87, v24
	v_lshl_add_u64 v[22:23], s[10:11], 0, v[102:103]
	v_lshlrev_b16_e32 v102, 4, v47
	v_mov_b32_e32 v61, v37
	v_lshl_add_u64 v[40:41], s[10:11], 0, v[102:103]
	ds_write_b64 v160, v[60:61] offset:272
	s_waitcnt lgkmcnt(0)
	s_barrier
	global_load_dwordx4 v[36:39], v[40:41], off offset:272
	global_load_dwordx4 v[32:35], v[22:23], off offset:272
	;; [unrolled: 1-line block ×3, first 2 shown]
	s_movk_i32 s1, 0xa1
	v_mul_lo_u16_sdwa v20, v82, s1 dst_sel:DWORD dst_unused:UNUSED_PAD src0_sel:BYTE_0 src1_sel:DWORD
	v_lshrrev_b16_e32 v40, 13, v20
	v_mul_lo_u16_e32 v20, 51, v40
	v_sub_u16_e32 v20, v82, v20
	v_and_b32_e32 v41, 0xff, v20
	v_lshlrev_b32_e32 v20, 4, v41
	global_load_dwordx4 v[20:23], v20, s[10:11] offset:272
	s_movk_i32 s1, 0x99
	v_mul_u32_u24_e32 v40, 0x99, v40
	v_add_lshl_u32 v167, v40, v41, 3
	v_mad_legacy_u16 v40, v42, s1, v43
	v_lshlrev_b32_e32 v166, 3, v40
	v_mad_legacy_u16 v40, v44, s1, v45
	v_lshlrev_b32_e32 v165, 3, v40
	ds_read2_b64 v[40:43], v85 offset0:22 offset1:175
	v_mad_legacy_u16 v44, v46, s1, v47
	v_lshlrev_b32_e32 v164, 3, v44
	ds_read2_b64 v[44:47], v104 offset0:50 offset1:203
	ds_read2_b64 v[48:51], v81 offset0:58 offset1:211
	v_lshlrev_b32_e32 v102, 3, v82
	s_waitcnt vmcnt(3) lgkmcnt(2)
	v_pk_mul_f32 v[52:53], v[42:43], v[36:37] op_sel:[0,1]
	s_nop 0
	v_pk_fma_f32 v[56:57], v[42:43], v[36:37], v[52:53] op_sel:[0,0,1] op_sel_hi:[1,1,0] neg_lo:[0,0,1] neg_hi:[0,0,1]
	v_pk_fma_f32 v[42:43], v[42:43], v[36:37], v[52:53] op_sel:[0,0,1] op_sel_hi:[1,0,0]
	s_nop 0
	v_mov_b32_e32 v42, v39
	v_mov_b32_e32 v57, v43
	s_waitcnt lgkmcnt(0)
	v_pk_mul_f32 v[42:43], v[50:51], v[42:43] op_sel_hi:[1,0]
	s_nop 0
	v_pk_fma_f32 v[58:59], v[50:51], v[38:39], v[42:43] op_sel:[0,0,1] op_sel_hi:[1,1,0] neg_lo:[0,0,1] neg_hi:[0,0,1]
	v_pk_fma_f32 v[42:43], v[50:51], v[38:39], v[42:43] op_sel:[0,0,1] op_sel_hi:[1,0,0]
	s_nop 0
	v_mov_b32_e32 v59, v43
	v_pk_add_f32 v[42:43], v[56:57], v[58:59]
	v_pk_add_f32 v[50:51], v[56:57], v[58:59] neg_lo:[0,1] neg_hi:[0,1]
	v_pk_fma_f32 v[42:43], v[42:43], 0.5, v[46:47] op_sel_hi:[1,0,1] neg_lo:[1,0,0] neg_hi:[1,0,0]
	v_pk_mul_f32 v[50:51], v[50:51], s[0:1] op_sel_hi:[1,0]
	s_nop 0
	v_pk_add_f32 v[60:61], v[42:43], v[50:51] op_sel:[0,1] op_sel_hi:[1,0] neg_lo:[0,1] neg_hi:[0,1]
	v_pk_add_f32 v[62:63], v[42:43], v[50:51] op_sel:[0,1] op_sel_hi:[1,0]
	s_waitcnt vmcnt(2)
	v_pk_mul_f32 v[42:43], v[40:41], v[32:33] op_sel:[0,1]
	s_nop 0
	v_pk_fma_f32 v[64:65], v[40:41], v[32:33], v[42:43] op_sel:[0,0,1] op_sel_hi:[1,1,0] neg_lo:[0,0,1] neg_hi:[0,0,1]
	v_pk_fma_f32 v[40:41], v[40:41], v[32:33], v[42:43] op_sel:[0,0,1] op_sel_hi:[1,0,0]
	s_nop 0
	v_mov_b32_e32 v40, v35
	v_mov_b32_e32 v65, v41
	v_pk_mul_f32 v[40:41], v[48:49], v[40:41] op_sel_hi:[1,0]
	s_nop 0
	v_pk_fma_f32 v[66:67], v[48:49], v[34:35], v[40:41] op_sel:[0,0,1] op_sel_hi:[1,1,0] neg_lo:[0,0,1] neg_hi:[0,0,1]
	v_pk_fma_f32 v[40:41], v[48:49], v[34:35], v[40:41] op_sel:[0,0,1] op_sel_hi:[1,0,0]
	s_nop 0
	v_mov_b32_e32 v67, v41
	v_pk_add_f32 v[40:41], v[64:65], v[66:67]
	s_nop 0
	v_pk_fma_f32 v[48:49], v[40:41], 0.5, v[44:45] op_sel_hi:[1,0,1] neg_lo:[1,0,0] neg_hi:[1,0,0]
	v_pk_add_f32 v[40:41], v[64:65], v[66:67] neg_lo:[0,1] neg_hi:[0,1]
	s_nop 0
	v_pk_mul_f32 v[50:51], v[40:41], s[0:1] op_sel_hi:[1,0]
	ds_read2_b64 v[40:43], v105 offset0:100 offset1:253
	v_pk_add_f32 v[68:69], v[48:49], v[50:51] op_sel:[0,1] op_sel_hi:[1,0] neg_lo:[0,1] neg_hi:[0,1]
	v_pk_add_f32 v[70:71], v[48:49], v[50:51] op_sel:[0,1] op_sel_hi:[1,0]
	ds_read2_b64 v[48:51], v83 offset1:153
	ds_read2_b64 v[52:55], v106 offset0:72 offset1:225
	s_waitcnt vmcnt(1) lgkmcnt(0)
	v_pk_mul_f32 v[72:73], v[42:43], v[24:25] op_sel:[0,1]
	s_barrier
	v_pk_fma_f32 v[74:75], v[42:43], v[24:25], v[72:73] op_sel:[0,0,1] op_sel_hi:[1,1,0] neg_lo:[0,0,1] neg_hi:[0,0,1]
	v_pk_fma_f32 v[42:43], v[42:43], v[24:25], v[72:73] op_sel:[0,0,1] op_sel_hi:[1,0,0]
	s_nop 0
	v_mov_b32_e32 v42, v27
	v_mov_b32_e32 v75, v43
	v_pk_mul_f32 v[42:43], v[54:55], v[42:43] op_sel_hi:[1,0]
	s_nop 0
	v_pk_fma_f32 v[72:73], v[54:55], v[26:27], v[42:43] op_sel:[0,0,1] op_sel_hi:[1,1,0] neg_lo:[0,0,1] neg_hi:[0,0,1]
	v_pk_fma_f32 v[42:43], v[54:55], v[26:27], v[42:43] op_sel:[0,0,1] op_sel_hi:[1,0,0]
	s_nop 0
	v_mov_b32_e32 v73, v43
	v_pk_add_f32 v[42:43], v[74:75], v[72:73]
	v_pk_add_f32 v[54:55], v[74:75], v[72:73] neg_lo:[0,1] neg_hi:[0,1]
	v_pk_fma_f32 v[42:43], v[42:43], 0.5, v[50:51] op_sel_hi:[1,0,1] neg_lo:[1,0,0] neg_hi:[1,0,0]
	v_pk_mul_f32 v[54:55], v[54:55], s[0:1] op_sel_hi:[1,0]
	s_nop 0
	v_pk_add_f32 v[76:77], v[42:43], v[54:55] op_sel:[0,1] op_sel_hi:[1,0] neg_lo:[0,1] neg_hi:[0,1]
	v_pk_add_f32 v[42:43], v[42:43], v[54:55] op_sel:[0,1] op_sel_hi:[1,0]
	s_waitcnt vmcnt(0)
	v_pk_mul_f32 v[54:55], v[40:41], v[20:21] op_sel:[0,1]
	s_nop 0
	v_pk_fma_f32 v[78:79], v[40:41], v[20:21], v[54:55] op_sel:[0,0,1] op_sel_hi:[1,1,0] neg_lo:[0,0,1] neg_hi:[0,0,1]
	v_pk_fma_f32 v[40:41], v[40:41], v[20:21], v[54:55] op_sel:[0,0,1] op_sel_hi:[1,0,0]
	s_nop 0
	v_mov_b32_e32 v40, v23
	v_mov_b32_e32 v79, v41
	v_pk_mul_f32 v[40:41], v[52:53], v[40:41] op_sel_hi:[1,0]
	s_nop 0
	v_pk_fma_f32 v[54:55], v[52:53], v[22:23], v[40:41] op_sel:[0,0,1] op_sel_hi:[1,1,0] neg_lo:[0,0,1] neg_hi:[0,0,1]
	v_pk_fma_f32 v[40:41], v[52:53], v[22:23], v[40:41] op_sel:[0,0,1] op_sel_hi:[1,0,0]
	s_nop 0
	v_mov_b32_e32 v55, v41
	v_pk_add_f32 v[52:53], v[78:79], v[54:55]
	v_pk_add_f32 v[40:41], v[48:49], v[78:79]
	v_pk_fma_f32 v[48:49], v[52:53], 0.5, v[48:49] op_sel_hi:[1,0,1] neg_lo:[1,0,0] neg_hi:[1,0,0]
	v_pk_add_f32 v[52:53], v[78:79], v[54:55] neg_lo:[0,1] neg_hi:[0,1]
	v_pk_add_f32 v[40:41], v[40:41], v[54:55]
	v_pk_mul_f32 v[52:53], v[52:53], s[0:1] op_sel_hi:[1,0]
	s_movk_i32 s1, 0x358b
	v_pk_add_f32 v[54:55], v[48:49], v[52:53] op_sel:[0,1] op_sel_hi:[1,0]
	v_pk_add_f32 v[48:49], v[48:49], v[52:53] op_sel:[0,1] op_sel_hi:[1,0] neg_lo:[0,1] neg_hi:[0,1]
	v_mov_b32_e32 v52, v54
	v_mov_b32_e32 v53, v49
	ds_write2_b64 v167, v[40:41], v[52:53] offset1:51
	v_mov_b32_e32 v49, v55
	v_pk_add_f32 v[40:41], v[50:51], v[74:75]
	ds_write_b64 v167, v[48:49] offset:816
	v_pk_add_f32 v[40:41], v[40:41], v[72:73]
	v_mov_b32_e32 v48, v42
	v_mov_b32_e32 v49, v77
	ds_write2_b64 v166, v[40:41], v[48:49] offset1:51
	v_pk_add_f32 v[40:41], v[44:45], v[64:65]
	v_mov_b32_e32 v77, v43
	v_pk_add_f32 v[40:41], v[40:41], v[66:67]
	v_mov_b32_e32 v42, v70
	v_mov_b32_e32 v43, v69
	ds_write_b64 v166, v[76:77] offset:816
	ds_write2_b64 v165, v[40:41], v[42:43] offset1:51
	v_pk_add_f32 v[40:41], v[46:47], v[56:57]
	v_mov_b32_e32 v69, v71
	v_pk_add_f32 v[40:41], v[40:41], v[58:59]
	v_mov_b32_e32 v42, v62
	v_mov_b32_e32 v43, v61
	ds_write_b64 v165, v[68:69] offset:816
	ds_write2_b64 v164, v[40:41], v[42:43] offset1:51
	v_mul_u32_u24_sdwa v41, v89, s1 dst_sel:DWORD dst_unused:UNUSED_PAD src0_sel:WORD_0 src1_sel:DWORD
	v_lshrrev_b32_e32 v41, 21, v41
	v_mul_lo_u16_e32 v41, 0x99, v41
	v_mul_u32_u24_sdwa v40, v88, s1 dst_sel:DWORD dst_unused:UNUSED_PAD src0_sel:WORD_0 src1_sel:DWORD
	v_sub_u16_e32 v41, v89, v41
	v_mov_b32_e32 v61, v63
	v_lshlrev_b32_e32 v168, 3, v41
	v_lshrrev_b32_e32 v40, 21, v40
	ds_write_b64 v164, v[60:61] offset:816
	s_waitcnt lgkmcnt(0)
	s_barrier
	global_load_dwordx2 v[96:97], v168, s[10:11] offset:1088
	v_mul_lo_u16_e32 v40, 0x99, v40
	v_sub_u16_e32 v40, v88, v40
	v_lshlrev_b32_e32 v169, 3, v40
	global_load_dwordx2 v[94:95], v169, s[10:11] offset:1088
	v_mul_u32_u24_sdwa v40, v87, s1 dst_sel:DWORD dst_unused:UNUSED_PAD src0_sel:WORD_0 src1_sel:DWORD
	v_lshrrev_b32_e32 v40, 21, v40
	v_mul_lo_u16_e32 v40, 0x99, v40
	v_sub_u16_e32 v40, v87, v40
	v_lshlrev_b32_e32 v170, 3, v40
	global_load_dwordx2 v[92:93], v170, s[10:11] offset:1088
	v_mul_u32_u24_sdwa v40, v86, s1 dst_sel:DWORD dst_unused:UNUSED_PAD src0_sel:WORD_0 src1_sel:DWORD
	v_lshrrev_b32_e32 v40, 21, v40
	v_mul_lo_u16_e32 v40, 0x99, v40
	v_sub_u16_e32 v40, v86, v40
	v_lshlrev_b32_e32 v171, 3, v40
	global_load_dwordx2 v[90:91], v171, s[10:11] offset:1088
	global_load_dwordx2 v[88:89], v102, s[10:11] offset:1088
	ds_read2_b64 v[40:43], v81 offset0:58 offset1:211
	ds_read2_b64 v[44:47], v105 offset0:100 offset1:253
	v_lshl_add_u64 v[58:59], s[10:11], 0, v[102:103]
	v_lshlrev_b32_e32 v102, 5, v82
	s_movk_i32 s1, 0x2000
	s_mov_b64 s[10:11], 0x20f0
	s_waitcnt vmcnt(4) lgkmcnt(1)
	v_pk_mul_f32 v[48:49], v[42:43], v[96:97] op_sel:[0,1]
	s_nop 0
	v_pk_fma_f32 v[50:51], v[42:43], v[96:97], v[48:49] op_sel:[0,0,1] op_sel_hi:[1,1,0] neg_lo:[0,0,1] neg_hi:[0,0,1]
	v_pk_fma_f32 v[42:43], v[42:43], v[96:97], v[48:49] op_sel:[0,0,1] op_sel_hi:[1,0,0]
	s_nop 0
	v_mov_b32_e32 v51, v43
	s_waitcnt lgkmcnt(0)
	v_pk_add_f32 v[60:61], v[46:47], v[50:51] neg_lo:[0,1] neg_hi:[0,1]
	ds_read2_b64 v[48:51], v106 offset0:72 offset1:225
	s_waitcnt vmcnt(3)
	v_pk_mul_f32 v[42:43], v[40:41], v[94:95] op_sel:[0,1]
	s_nop 0
	v_pk_fma_f32 v[52:53], v[40:41], v[94:95], v[42:43] op_sel:[0,0,1] op_sel_hi:[1,1,0] neg_lo:[0,0,1] neg_hi:[0,0,1]
	v_pk_fma_f32 v[40:41], v[40:41], v[94:95], v[42:43] op_sel:[0,0,1] op_sel_hi:[1,0,0]
	s_nop 0
	v_mov_b32_e32 v53, v41
	ds_read2_b64 v[40:43], v104 offset0:50 offset1:203
	v_pk_add_f32 v[62:63], v[44:45], v[52:53] neg_lo:[0,1] neg_hi:[0,1]
	s_waitcnt vmcnt(2) lgkmcnt(1)
	v_pk_mul_f32 v[52:53], v[50:51], v[92:93] op_sel:[0,1]
	s_nop 0
	v_pk_fma_f32 v[54:55], v[50:51], v[92:93], v[52:53] op_sel:[0,0,1] op_sel_hi:[1,1,0] neg_lo:[0,0,1] neg_hi:[0,0,1]
	v_pk_fma_f32 v[50:51], v[50:51], v[92:93], v[52:53] op_sel:[0,0,1] op_sel_hi:[1,0,0]
	s_nop 0
	v_mov_b32_e32 v55, v51
	s_waitcnt lgkmcnt(0)
	v_pk_add_f32 v[64:65], v[42:43], v[54:55] neg_lo:[0,1] neg_hi:[0,1]
	s_waitcnt vmcnt(1)
	v_pk_mul_f32 v[54:55], v[48:49], v[90:91] op_sel:[0,1]
	ds_read2_b64 v[50:53], v85 offset0:22 offset1:175
	v_pk_fma_f32 v[56:57], v[48:49], v[90:91], v[54:55] op_sel:[0,0,1] op_sel_hi:[1,1,0] neg_lo:[0,0,1] neg_hi:[0,0,1]
	v_pk_fma_f32 v[48:49], v[48:49], v[90:91], v[54:55] op_sel:[0,0,1] op_sel_hi:[1,0,0]
	s_waitcnt vmcnt(0) lgkmcnt(0)
	v_pk_mul_f32 v[66:67], v[52:53], v[88:89] op_sel:[0,1]
	v_mov_b32_e32 v57, v49
	v_pk_add_f32 v[48:49], v[40:41], v[56:57] neg_lo:[0,1] neg_hi:[0,1]
	ds_read2_b64 v[54:57], v83 offset1:153
	v_pk_fma_f32 v[68:69], v[52:53], v[88:89], v[66:67] op_sel:[0,0,1] op_sel_hi:[1,1,0] neg_lo:[0,0,1] neg_hi:[0,0,1]
	v_pk_fma_f32 v[52:53], v[52:53], v[88:89], v[66:67] op_sel:[0,0,1] op_sel_hi:[1,0,0]
	v_pk_mul_f32 v[66:67], v[50:51], v[88:89] op_sel:[0,1]
	v_mov_b32_e32 v69, v53
	s_waitcnt lgkmcnt(0)
	v_pk_add_f32 v[52:53], v[56:57], v[68:69] neg_lo:[0,1] neg_hi:[0,1]
	v_pk_fma_f32 v[68:69], v[50:51], v[88:89], v[66:67] op_sel:[0,0,1] op_sel_hi:[1,1,0] neg_lo:[0,0,1] neg_hi:[0,0,1]
	v_pk_fma_f32 v[50:51], v[50:51], v[88:89], v[66:67] op_sel:[0,0,1] op_sel_hi:[1,0,0]
	s_nop 0
	v_mov_b32_e32 v69, v51
	v_pk_add_f32 v[50:51], v[54:55], v[68:69] neg_lo:[0,1] neg_hi:[0,1]
	s_barrier
	v_pk_fma_f32 v[54:55], v[54:55], 2.0, v[50:51] op_sel_hi:[1,0,1] neg_lo:[0,0,1] neg_hi:[0,0,1]
	ds_write2_b64 v83, v[54:55], v[50:51] offset1:153
	v_pk_fma_f32 v[50:51], v[56:57], 2.0, v[52:53] op_sel_hi:[1,0,1] neg_lo:[0,0,1] neg_hi:[0,0,1]
	ds_write2_b64 v104, v[50:51], v[52:53] offset0:50 offset1:203
	v_pk_fma_f32 v[40:41], v[40:41], 2.0, v[48:49] op_sel_hi:[1,0,1] neg_lo:[0,0,1] neg_hi:[0,0,1]
	v_add_u32_e32 v50, 0x1000, v171
	ds_write2_b64 v50, v[40:41], v[48:49] offset0:100 offset1:253
	v_pk_fma_f32 v[40:41], v[42:43], 2.0, v[64:65] op_sel_hi:[1,0,1] neg_lo:[0,0,1] neg_hi:[0,0,1]
	v_add_u32_e32 v42, 0x1c00, v170
	;; [unrolled: 3-line block ×4, first 2 shown]
	ds_write2_b64 v42, v[40:41], v[60:61] offset0:58 offset1:211
	v_lshl_add_u64 v[40:41], v[58:59], 0, v[102:103]
	s_waitcnt lgkmcnt(0)
	s_barrier
	global_load_dwordx4 v[52:55], v[40:41], off offset:2312
	global_load_dwordx4 v[44:47], v[40:41], off offset:2328
	global_load_dwordx2 v[174:175], v[40:41], off offset:2344
	v_add_co_u32_e32 v42, vcc, s1, v40
	v_lshl_add_u64 v[56:57], v[40:41], 0, s[10:11]
	s_nop 0
	v_addc_co_u32_e32 v43, vcc, 0, v41, vcc
	global_load_dwordx4 v[48:51], v[42:43], off offset:240
	s_nop 0
	global_load_dwordx4 v[40:43], v[56:57], off offset:16
	global_load_dwordx2 v[172:173], v[56:57], off offset:32
	ds_read2_b64 v[56:59], v104 offset0:50 offset1:203
	ds_read2_b64 v[60:63], v85 offset0:22 offset1:175
	s_mov_b32 s11, 0xbf5db3d7
	s_mov_b32 s10, s0
	s_waitcnt lgkmcnt(0)
	v_mov_b32_e32 v68, v61
	s_waitcnt vmcnt(5)
	v_mov_b32_e32 v64, v53
	v_pk_mul_f32 v[64:65], v[56:57], v[64:65] op_sel:[1,0] op_sel_hi:[0,1]
	v_pk_fma_f32 v[72:73], v[56:57], v[52:53], v[64:65] neg_lo:[0,0,1] neg_hi:[0,0,1]
	ds_read2_b64 v[64:67], v81 offset0:58 offset1:211
	s_waitcnt vmcnt(4)
	v_mov_b32_e32 v70, v45
	v_pk_mul_f32 v[74:75], v[56:57], v[52:53] op_sel:[1,0] op_sel_hi:[0,1]
	v_pk_mul_f32 v[56:57], v[60:61], v[44:45]
	v_pk_mul_f32 v[60:61], v[60:61], v[70:71]
	s_waitcnt vmcnt(2)
	v_mov_b32_e32 v86, v49
	v_pk_fma_f32 v[76:77], v[68:69], v[44:45], v[60:61]
	s_waitcnt lgkmcnt(0)
	v_pk_mul_f32 v[60:61], v[64:65], v[174:175]
	v_mov_b32_e32 v68, v56
	v_mov_b32_e32 v69, v60
	;; [unrolled: 1-line block ×3, first 2 shown]
	v_pk_add_f32 v[78:79], v[68:69], v[60:61] neg_lo:[0,1] neg_hi:[0,1]
	ds_read2_b64 v[68:71], v105 offset0:100 offset1:253
	v_mov_b32_e32 v60, v175
	v_mov_b32_e32 v56, v65
	v_pk_mul_f32 v[60:61], v[64:65], v[60:61]
	s_waitcnt vmcnt(1)
	v_pk_mul_f32 v[112:113], v[62:63], v[40:41]
	v_pk_fma_f32 v[64:65], v[56:57], v[174:175], v[60:61]
	v_pk_mul_f32 v[60:61], v[58:59], v[48:49]
	v_mov_b32_e32 v56, v59
	v_pk_mul_f32 v[58:59], v[58:59], v[86:87]
	s_waitcnt lgkmcnt(0)
	v_pk_mul_f32 v[108:109], v[70:71], v[50:51]
	v_pk_fma_f32 v[86:87], v[56:57], v[48:49], v[58:59]
	v_mov_b32_e32 v58, v51
	v_mov_b32_e32 v56, v71
	v_pk_mul_f32 v[58:59], v[70:71], v[58:59]
	v_mov_b32_e32 v112, v61
	v_pk_fma_f32 v[70:71], v[56:57], v[50:51], v[58:59]
	v_mov_b32_e32 v57, v40
	v_pk_mul_f32 v[110:111], v[62:63], v[56:57] op_sel:[1,0] op_sel_hi:[0,1]
	ds_read2_b64 v[56:59], v106 offset0:72 offset1:225
	v_mov_b32_e32 v110, v60
	v_pk_mul_f32 v[60:61], v[62:63], v[40:41] op_sel:[1,0] op_sel_hi:[0,1]
	v_mov_b32_e32 v63, v42
	v_pk_add_f32 v[110:111], v[110:111], v[112:113] neg_lo:[0,1] neg_hi:[0,1]
	s_waitcnt lgkmcnt(0)
	v_pk_mul_f32 v[62:63], v[58:59], v[62:63] op_sel:[1,0] op_sel_hi:[0,1]
	v_pk_mul_f32 v[112:113], v[58:59], v[42:43]
	v_mov_b32_e32 v62, v108
	v_mov_b32_e32 v112, v109
	v_pk_mul_f32 v[108:109], v[58:59], v[42:43] op_sel:[1,0] op_sel_hi:[0,1]
	v_mov_b32_e32 v102, v109
	v_pk_fma_f32 v[108:109], v[58:59], v[42:43], v[102:103] op_sel:[1,0,0] op_sel_hi:[0,1,1]
	s_waitcnt vmcnt(0)
	v_mov_b32_e32 v58, v173
	v_pk_mul_f32 v[58:59], v[66:67], v[58:59] op_sel:[1,0] op_sel_hi:[0,1]
	v_pk_add_f32 v[62:63], v[62:63], v[112:113] neg_lo:[0,1] neg_hi:[0,1]
	v_pk_fma_f32 v[112:113], v[66:67], v[172:173], v[58:59] neg_lo:[0,0,1] neg_hi:[0,0,1]
	v_pk_mul_f32 v[58:59], v[66:67], v[172:173] op_sel:[1,0] op_sel_hi:[0,1]
	v_mov_b32_e32 v66, v60
	v_mov_b32_e32 v67, v58
	;; [unrolled: 1-line block ×3, first 2 shown]
	v_pk_add_f32 v[66:67], v[66:67], v[58:59]
	ds_read2_b64 v[58:61], v83 offset1:153
	v_mov_b32_e32 v102, v55
	v_pk_mul_f32 v[114:115], v[68:69], v[102:103] op_sel_hi:[1,0]
	v_mov_b32_e32 v102, v47
	v_pk_fma_f32 v[116:117], v[68:69], v[54:55], v[114:115] op_sel:[0,0,1] op_sel_hi:[1,1,0] neg_lo:[0,0,1] neg_hi:[0,0,1]
	v_pk_fma_f32 v[68:69], v[68:69], v[54:55], v[114:115] op_sel:[0,0,1] op_sel_hi:[1,0,0]
	v_pk_mul_f32 v[114:115], v[56:57], v[102:103] op_sel_hi:[1,0]
	v_mov_b32_e32 v117, v69
	v_pk_fma_f32 v[118:119], v[56:57], v[46:47], v[114:115] op_sel:[0,0,1] op_sel_hi:[1,1,0] neg_lo:[0,0,1] neg_hi:[0,0,1]
	v_pk_fma_f32 v[56:57], v[56:57], v[46:47], v[114:115] op_sel:[0,0,1] op_sel_hi:[1,0,0]
	v_add_f32_e32 v65, v78, v79
	v_mov_b32_e32 v119, v57
	v_mov_b32_e32 v120, v74
	;; [unrolled: 1-line block ×5, first 2 shown]
	s_waitcnt lgkmcnt(0)
	v_pk_add_f32 v[68:69], v[58:59], v[116:117]
	v_pk_add_f32 v[56:57], v[116:117], v[118:119] neg_lo:[0,1] neg_hi:[0,1]
	v_pk_add_f32 v[114:115], v[116:117], v[118:119]
	v_pk_add_f32 v[116:117], v[72:73], v[78:79]
	v_fmac_f32_e32 v72, -0.5, v65
	v_sub_f32_e32 v65, v76, v64
	v_pk_add_f32 v[74:75], v[120:121], v[74:75]
	v_fmamk_f32 v102, v65, 0x3f5db3d7, v72
	v_fmac_f32_e32 v72, 0xbf5db3d7, v65
	v_pk_add_f32 v[76:77], v[74:75], v[76:77]
	v_fmac_f32_e32 v74, -0.5, v75
	v_sub_f32_e32 v65, v78, v79
	v_fmamk_f32 v78, v65, 0xbf5db3d7, v74
	v_fmac_f32_e32 v74, 0x3f5db3d7, v65
	v_add_f32_e32 v65, v111, v112
	v_mov_b32_e32 v124, v111
	v_fma_f32 v77, -0.5, v65, v110
	v_sub_f32_e32 v65, v66, v67
	v_pk_add_f32 v[124:125], v[110:111], v[124:125]
	v_fmamk_f32 v110, v65, 0x3f5db3d7, v77
	v_fmac_f32_e32 v77, 0xbf5db3d7, v65
	v_add_f32_e32 v65, v66, v67
	v_mov_b32_e32 v120, v63
	v_pk_add_f32 v[126:127], v[86:87], v[66:67]
	v_fmac_f32_e32 v86, -0.5, v65
	v_sub_f32_e32 v65, v111, v112
	v_pk_add_f32 v[120:121], v[62:63], v[120:121]
	v_pk_add_f32 v[122:123], v[70:71], v[108:109]
	v_fmamk_f32 v66, v65, 0xbf5db3d7, v86
	v_fmac_f32_e32 v86, 0x3f5db3d7, v65
	v_mov_b32_e32 v65, v70
	v_pk_add_f32 v[130:131], v[60:61], v[64:65]
	v_mov_b32_e32 v121, v122
	v_mov_b32_e32 v71, v62
	;; [unrolled: 1-line block ×3, first 2 shown]
	v_pk_add_f32 v[128:129], v[60:61], v[62:63]
	v_mov_b32_e32 v130, v63
	v_pk_fma_f32 v[60:61], v[120:121], 0.5, v[60:61] op_sel_hi:[1,0,1] neg_lo:[1,0,0] neg_hi:[1,0,0]
	v_pk_add_f32 v[62:63], v[70:71], v[108:109] neg_lo:[0,1] neg_hi:[0,1]
	v_mov_b32_e32 v129, v131
	v_mov_b32_e32 v131, v108
	v_pk_fma_f32 v[70:71], v[62:63], s[0:1], v[60:61] op_sel_hi:[1,0,1]
	v_pk_fma_f32 v[108:109], v[62:63], s[0:1], v[60:61] op_sel_hi:[1,0,1] neg_lo:[1,0,0] neg_hi:[1,0,0]
	v_pk_mul_f32 v[60:61], v[110:111], s[14:15] op_sel_hi:[0,1]
	s_mov_b32 s1, s14
	v_pk_fma_f32 v[110:111], v[66:67], s[0:1], v[60:61]
	v_pk_fma_f32 v[60:61], v[66:67], s[0:1], v[60:61] op_sel_hi:[0,1,1] neg_lo:[0,0,1] neg_hi:[0,0,1]
	v_pk_fma_f32 v[58:59], v[114:115], 0.5, v[58:59] op_sel_hi:[1,0,1] neg_lo:[1,0,0] neg_hi:[1,0,0]
	v_mov_b32_e32 v113, v67
	v_mov_b32_e32 v111, v61
	v_pk_fma_f32 v[60:61], v[56:57], s[0:1], v[58:59] op_sel:[1,0,0] op_sel_hi:[0,0,1] neg_lo:[1,0,0] neg_hi:[1,0,0]
	v_pk_fma_f32 v[66:67], v[56:57], s[0:1], v[58:59] op_sel:[1,0,0] op_sel_hi:[0,0,1]
	v_pk_mul_f32 v[58:59], v[102:103], s[14:15] op_sel_hi:[0,1]
	v_mov_b32_e32 v117, v76
	v_mov_b32_e32 v56, v79
	;; [unrolled: 1-line block ×4, first 2 shown]
	v_pk_fma_f32 v[72:73], v[78:79], s[0:1], v[58:59]
	v_pk_fma_f32 v[58:59], v[78:79], s[0:1], v[58:59] op_sel_hi:[0,1,1] neg_lo:[0,0,1] neg_hi:[0,0,1]
	v_pk_add_f32 v[62:63], v[68:69], v[118:119]
	v_mov_b32_e32 v69, v67
	v_pk_add_f32 v[64:65], v[116:117], v[56:57]
	v_pk_mul_f32 v[56:57], v[74:75], 0.5 op_sel_hi:[1,0]
	v_mov_b32_e32 v73, v59
	v_mov_b32_e32 v67, v61
	v_mov_b32_e32 v87, v77
	v_mov_b32_e32 v120, v70
	v_mov_b32_e32 v121, v109
	v_mov_b32_e32 v109, v71
	v_mov_b32_e32 v125, v126
	v_pk_fma_f32 v[70:71], v[74:75], s[10:11], v[56:57] op_sel:[0,0,1] op_sel_hi:[1,1,0] neg_lo:[0,0,1] neg_hi:[0,0,1]
	v_pk_add_f32 v[56:57], v[62:63], v[64:65]
	v_pk_add_f32 v[58:59], v[66:67], v[72:73]
	v_pk_add_f32 v[62:63], v[62:63], v[64:65] neg_lo:[0,1] neg_hi:[0,1]
	v_pk_add_f32 v[64:65], v[66:67], v[72:73] neg_lo:[0,1] neg_hi:[0,1]
	v_pk_mul_f32 v[72:73], v[86:87], 0.5 op_sel_hi:[1,0]
	v_pk_add_f32 v[128:129], v[128:129], v[130:131]
	v_pk_add_f32 v[112:113], v[124:125], v[112:113]
	v_mov_b32_e32 v68, v60
	v_pk_fma_f32 v[78:79], v[86:87], s[10:11], v[72:73] op_sel:[0,0,1] op_sel_hi:[1,1,0] neg_lo:[0,0,1] neg_hi:[0,0,1]
	v_pk_add_f32 v[60:61], v[68:69], v[70:71]
	v_pk_add_f32 v[66:67], v[68:69], v[70:71] neg_lo:[0,1] neg_hi:[0,1]
	v_pk_add_f32 v[68:69], v[128:129], v[112:113]
	v_pk_add_f32 v[70:71], v[120:121], v[110:111]
	;; [unrolled: 1-line block ×3, first 2 shown]
	v_pk_add_f32 v[74:75], v[128:129], v[112:113] neg_lo:[0,1] neg_hi:[0,1]
	v_pk_add_f32 v[76:77], v[120:121], v[110:111] neg_lo:[0,1] neg_hi:[0,1]
	;; [unrolled: 1-line block ×3, first 2 shown]
	ds_write2_b64 v83, v[56:57], v[68:69] offset1:153
	ds_write2_b64 v104, v[58:59], v[70:71] offset0:50 offset1:203
	ds_write2_b64 v105, v[60:61], v[72:73] offset0:100 offset1:253
	ds_write2_b64 v85, v[62:63], v[74:75] offset0:22 offset1:175
	ds_write2_b64 v106, v[64:65], v[76:77] offset0:72 offset1:225
	ds_write2_b64 v81, v[66:67], v[78:79] offset0:58 offset1:211
	s_waitcnt lgkmcnt(0)
	s_barrier
	s_and_saveexec_b64 s[0:1], s[2:3]
	s_cbranch_execz .LBB0_9
; %bb.8:
	v_mov_b32_e32 v81, v103
	v_lshl_add_u64 v[86:87], s[8:9], 0, v[80:81]
	v_add_co_u32_e32 v102, vcc, 0x3000, v86
	s_mov_b64 s[10:11], 0x3960
	s_nop 0
	v_addc_co_u32_e32 v103, vcc, 0, v87, vcc
	global_load_dwordx2 v[102:103], v[102:103], off offset:2400
	v_lshl_add_u64 v[104:105], v[86:87], 0, s[10:11]
	s_movk_i32 s10, 0x4000
	global_load_dwordx2 v[122:123], v[104:105], off offset:864
	global_load_dwordx2 v[124:125], v[104:105], off offset:1728
	;; [unrolled: 1-line block ×4, first 2 shown]
	v_add_co_u32_e32 v104, vcc, s10, v86
	s_movk_i32 s10, 0x5000
	s_nop 0
	v_addc_co_u32_e32 v105, vcc, 0, v87, vcc
	global_load_dwordx2 v[130:131], v[104:105], off offset:2624
	global_load_dwordx2 v[132:133], v[104:105], off offset:3488
	v_add_co_u32_e32 v104, vcc, s10, v86
	s_movk_i32 s10, 0x6000
	s_nop 0
	v_addc_co_u32_e32 v105, vcc, 0, v87, vcc
	global_load_dwordx2 v[134:135], v[104:105], off offset:256
	global_load_dwordx2 v[136:137], v[104:105], off offset:1120
	;; [unrolled: 1-line block ×5, first 2 shown]
	v_add_co_u32_e32 v86, vcc, s10, v86
	v_add_u32_e32 v81, 0x800, v80
	s_nop 0
	v_addc_co_u32_e32 v87, vcc, 0, v87, vcc
	global_load_dwordx2 v[144:145], v[86:87], off offset:480
	global_load_dwordx2 v[146:147], v[86:87], off offset:1344
	;; [unrolled: 1-line block ×3, first 2 shown]
	ds_read_b64 v[104:105], v83
	global_load_dwordx2 v[150:151], v[86:87], off offset:3072
	s_nop 0
	global_load_dwordx2 v[86:87], v[86:87], off offset:3936
	v_add_u32_e32 v85, 0x1000, v80
	v_add_u32_e32 v98, 0x1400, v80
	;; [unrolled: 1-line block ×3, first 2 shown]
	s_waitcnt vmcnt(16) lgkmcnt(0)
	v_mul_f32_e32 v100, v105, v103
	v_mul_f32_e32 v107, v104, v103
	v_fma_f32 v106, v104, v102, -v100
	v_fmac_f32_e32 v107, v105, v102
	ds_write_b64 v83, v[106:107]
	ds_read2_b64 v[102:105], v80 offset0:108 offset1:216
	ds_read2_b64 v[106:109], v81 offset0:68 offset1:176
	;; [unrolled: 1-line block ×5, first 2 shown]
	s_waitcnt vmcnt(15) lgkmcnt(4)
	v_mul_f32_e32 v100, v103, v123
	v_mul_f32_e32 v153, v102, v123
	s_waitcnt vmcnt(14)
	v_mul_f32_e32 v101, v105, v125
	v_mul_f32_e32 v123, v104, v125
	s_waitcnt vmcnt(13) lgkmcnt(3)
	v_mul_f32_e32 v154, v107, v127
	v_mul_f32_e32 v125, v106, v127
	s_waitcnt vmcnt(12)
	v_mul_f32_e32 v155, v109, v129
	v_mul_f32_e32 v127, v108, v129
	s_waitcnt vmcnt(11) lgkmcnt(2)
	v_mul_f32_e32 v156, v111, v131
	v_mul_f32_e32 v129, v110, v131
	s_waitcnt vmcnt(10)
	v_mul_f32_e32 v157, v113, v133
	v_mul_f32_e32 v131, v112, v133
	s_waitcnt vmcnt(9) lgkmcnt(1)
	v_mul_f32_e32 v158, v115, v135
	v_mul_f32_e32 v133, v114, v135
	s_waitcnt vmcnt(8)
	v_mul_f32_e32 v159, v117, v137
	v_mul_f32_e32 v135, v116, v137
	v_fma_f32 v152, v102, v122, -v100
	v_fmac_f32_e32 v153, v103, v122
	v_fma_f32 v122, v104, v124, -v101
	v_fmac_f32_e32 v123, v105, v124
	;; [unrolled: 2-line block ×8, first 2 shown]
	ds_write2_b64 v80, v[152:153], v[122:123] offset0:108 offset1:216
	ds_write2_b64 v81, v[124:125], v[126:127] offset0:68 offset1:176
	ds_write2_b64 v85, v[128:129], v[130:131] offset0:28 offset1:136
	ds_write2_b64 v98, v[132:133], v[134:135] offset0:116 offset1:224
	v_add_u32_e32 v85, 0x2400, v80
	ds_read2_b64 v[102:105], v85 offset0:36 offset1:144
	s_waitcnt vmcnt(7) lgkmcnt(5)
	v_mul_f32_e32 v137, v119, v139
	v_mul_f32_e32 v107, v118, v139
	s_waitcnt vmcnt(6)
	v_mul_f32_e32 v81, v121, v141
	v_mul_f32_e32 v109, v120, v141
	v_fma_f32 v106, v118, v138, -v137
	v_fmac_f32_e32 v107, v119, v138
	v_fma_f32 v108, v120, v140, -v81
	v_fmac_f32_e32 v109, v121, v140
	s_waitcnt vmcnt(5) lgkmcnt(0)
	v_mul_f32_e32 v81, v103, v143
	v_mul_f32_e32 v111, v102, v143
	v_add_u32_e32 v98, 0x2800, v80
	ds_write2_b64 v99, v[106:107], v[108:109] offset0:76 offset1:184
	v_fma_f32 v110, v102, v142, -v81
	v_fmac_f32_e32 v111, v103, v142
	s_waitcnt vmcnt(4)
	v_mul_f32_e32 v81, v105, v145
	ds_read2_b64 v[106:109], v98 offset0:124 offset1:232
	v_mul_f32_e32 v103, v104, v145
	v_fma_f32 v102, v104, v144, -v81
	v_fmac_f32_e32 v103, v105, v144
	ds_write2_b64 v85, v[110:111], v[102:103] offset0:36 offset1:144
	v_add_u32_e32 v85, 0x3000, v80
	ds_read2_b64 v[102:105], v85 offset0:84 offset1:192
	s_waitcnt vmcnt(3) lgkmcnt(2)
	v_mul_f32_e32 v81, v107, v147
	v_mul_f32_e32 v111, v106, v147
	v_fma_f32 v110, v106, v146, -v81
	v_fmac_f32_e32 v111, v107, v146
	s_waitcnt vmcnt(2)
	v_mul_f32_e32 v81, v109, v149
	v_mul_f32_e32 v107, v108, v149
	v_fma_f32 v106, v108, v148, -v81
	v_fmac_f32_e32 v107, v109, v148
	ds_write2_b64 v98, v[110:111], v[106:107] offset0:124 offset1:232
	s_waitcnt vmcnt(1) lgkmcnt(1)
	v_mul_f32_e32 v81, v103, v151
	v_mul_f32_e32 v107, v102, v151
	v_fma_f32 v106, v102, v150, -v81
	v_fmac_f32_e32 v107, v103, v150
	s_waitcnt vmcnt(0)
	v_mul_f32_e32 v81, v105, v87
	v_mul_f32_e32 v103, v104, v87
	v_fma_f32 v102, v104, v86, -v81
	v_fmac_f32_e32 v103, v105, v86
	ds_write2_b64 v85, v[106:107], v[102:103] offset0:84 offset1:192
.LBB0_9:
	s_or_b64 exec, exec, s[0:1]
	s_waitcnt lgkmcnt(0)
	s_barrier
	s_and_saveexec_b64 s[0:1], s[2:3]
	s_cbranch_execz .LBB0_11
; %bb.10:
	v_add_u32_e32 v16, 0x400, v83
	ds_read2_b64 v[60:63], v16 offset0:88 offset1:196
	v_add_u32_e32 v16, 0xc00, v83
	ds_read2_b64 v[64:67], v16 offset0:48 offset1:156
	;; [unrolled: 2-line block ×6, first 2 shown]
	v_add_u32_e32 v16, 0x2c00, v83
	ds_read2_b64 v[56:59], v83 offset1:108
	ds_read2_b64 v[16:19], v16 offset0:104 offset1:212
	ds_read_b64 v[252:253], v83 offset:13824
.LBB0_11:
	s_or_b64 exec, exec, s[0:1]
	v_mov_b32_e32 v146, v12
	v_mov_b32_e32 v147, v12
	;; [unrolled: 1-line block ×69, first 2 shown]
	s_waitcnt lgkmcnt(0)
	s_barrier
	s_and_saveexec_b64 s[0:1], s[2:3]
	s_cbranch_execz .LBB0_13
; %bb.12:
	v_accvgpr_write_b32 a6, v86
	v_accvgpr_write_b32 a7, v87
	v_pk_add_f32 v[86:87], v[58:59], v[56:57]
	v_lshlrev_b32_e32 v81, 3, v84
	v_pk_add_f32 v[86:87], v[60:61], v[86:87]
	v_pk_add_f32 v[242:243], v[58:59], v[252:253] neg_lo:[0,1] neg_hi:[0,1]
	v_pk_add_f32 v[86:87], v[62:63], v[86:87]
	s_mov_b32 s28, 0xbeb8f4ab
	v_pk_add_f32 v[86:87], v[64:65], v[86:87]
	v_pk_add_f32 v[240:241], v[252:253], v[58:59]
	v_pk_add_f32 v[86:87], v[66:67], v[86:87]
	v_pk_add_f32 v[234:235], v[62:63], v[16:17] neg_lo:[0,1] neg_hi:[0,1]
	v_pk_add_f32 v[84:85], v[68:69], v[86:87]
	v_pk_add_f32 v[232:233], v[16:17], v[62:63]
	;; [unrolled: 1-line block ×3, first 2 shown]
	s_mov_b32 s18, 0x3f6eb680
	v_pk_add_f32 v[84:85], v[72:73], v[84:85]
	v_pk_add_f32 v[238:239], v[60:61], v[18:19] neg_lo:[0,1] neg_hi:[0,1]
	v_pk_add_f32 v[84:85], v[74:75], v[84:85]
	v_pk_add_f32 v[214:215], v[66:67], v[28:29] neg_lo:[0,1] neg_hi:[0,1]
	v_pk_add_f32 v[84:85], v[76:77], v[84:85]
	v_pk_add_f32 v[212:213], v[28:29], v[66:67]
	;; [unrolled: 1-line block ×3, first 2 shown]
	s_mov_b32 s42, 0xbf2c7751
	v_pk_add_f32 v[84:85], v[28:29], v[84:85]
	v_pk_add_f32 v[236:237], v[18:19], v[60:61]
	;; [unrolled: 1-line block ×3, first 2 shown]
	s_mov_b32 s16, 0x3f3d2fb0
	v_pk_add_f32 v[84:85], v[16:17], v[84:85]
	v_pk_mul_f32 v[16:17], v[242:243], s[28:29] op_sel_hi:[1,0]
	v_pk_add_f32 v[84:85], v[18:19], v[84:85]
	v_pk_fma_f32 v[28:29], v[240:241], s[18:19], v[16:17] op_sel:[0,0,1] op_sel_hi:[1,0,0] neg_lo:[0,0,1] neg_hi:[0,0,1]
	v_pk_fma_f32 v[18:19], v[240:241], s[18:19], v[16:17] op_sel:[0,0,1] op_sel_hi:[1,0,0]
	v_mov_b32_e32 v17, v29
	v_accvgpr_write_b32 a10, v28
	v_pk_mul_f32 v[28:29], v[238:239], s[42:43] op_sel_hi:[1,0]
	v_pk_add_f32 v[226:227], v[64:65], v[30:31] neg_lo:[0,1] neg_hi:[0,1]
	v_pk_add_f32 v[220:221], v[30:31], v[64:65]
	v_mov_b32_e32 v16, v18
	v_accvgpr_write_b32 a1, v19
	v_pk_fma_f32 v[18:19], v[236:237], s[16:17], v[28:29] op_sel:[0,0,1] op_sel_hi:[1,0,0]
	v_pk_fma_f32 v[30:31], v[236:237], s[16:17], v[28:29] op_sel:[0,0,1] op_sel_hi:[1,0,0] neg_lo:[0,0,1] neg_hi:[0,0,1]
	v_pk_add_f32 v[16:17], v[56:57], v[16:17]
	v_mov_b32_e32 v28, v18
	v_mov_b32_e32 v29, v31
	s_mov_b32 s50, 0xbf65296c
	v_pk_add_f32 v[16:17], v[28:29], v[16:17]
	s_mov_b32 s14, 0x3ee437d1
	v_pk_mul_f32 v[28:29], v[234:235], s[50:51] op_sel_hi:[1,0]
	v_accvgpr_write_b32 a11, v19
	v_accvgpr_write_b32 a12, v30
	v_pk_fma_f32 v[18:19], v[232:233], s[14:15], v[28:29] op_sel:[0,0,1] op_sel_hi:[1,0,0]
	v_pk_fma_f32 v[30:31], v[232:233], s[14:15], v[28:29] op_sel:[0,0,1] op_sel_hi:[1,0,0] neg_lo:[0,0,1] neg_hi:[0,0,1]
	v_mov_b32_e32 v28, v18
	v_mov_b32_e32 v29, v31
	s_mov_b32 s40, 0xbf7ee86f
	v_pk_add_f32 v[16:17], v[28:29], v[16:17]
	s_mov_b32 s10, 0x3dbcf732
	v_pk_mul_f32 v[28:29], v[226:227], s[40:41] op_sel_hi:[1,0]
	v_accvgpr_write_b32 a13, v19
	v_accvgpr_write_b32 a14, v30
	v_pk_fma_f32 v[18:19], v[220:221], s[10:11], v[28:29] op_sel:[0,0,1] op_sel_hi:[1,0,0]
	v_pk_fma_f32 v[30:31], v[220:221], s[10:11], v[28:29] op_sel:[0,0,1] op_sel_hi:[1,0,0] neg_lo:[0,0,1] neg_hi:[0,0,1]
	;; [unrolled: 10-line block ×3, first 2 shown]
	v_pk_add_f32 v[206:207], v[68:69], v[78:79] neg_lo:[0,1] neg_hi:[0,1]
	v_mov_b32_e32 v28, v18
	v_mov_b32_e32 v29, v31
	s_mov_b32 s26, 0xbf4c4adb
	v_pk_add_f32 v[204:205], v[78:79], v[68:69]
	v_pk_add_f32 v[16:17], v[28:29], v[16:17]
	s_mov_b32 s24, 0xbf1a4643
	v_pk_mul_f32 v[28:29], v[206:207], s[26:27] op_sel_hi:[1,0]
	v_accvgpr_write_b32 a17, v19
	v_accvgpr_write_b32 a18, v30
	v_pk_fma_f32 v[18:19], v[204:205], s[24:25], v[28:29] op_sel:[0,0,1] op_sel_hi:[1,0,0]
	v_pk_fma_f32 v[30:31], v[204:205], s[24:25], v[28:29] op_sel:[0,0,1] op_sel_hi:[1,0,0] neg_lo:[0,0,1] neg_hi:[0,0,1]
	v_pk_add_f32 v[198:199], v[70:71], v[76:77] neg_lo:[0,1] neg_hi:[0,1]
	v_mov_b32_e32 v28, v18
	v_mov_b32_e32 v29, v31
	s_mov_b32 s34, 0xbf06c442
	v_pk_add_f32 v[196:197], v[76:77], v[70:71]
	v_pk_add_f32 v[16:17], v[28:29], v[16:17]
	s_mov_b32 s30, 0xbf59a7d5
	v_pk_mul_f32 v[28:29], v[198:199], s[34:35] op_sel_hi:[1,0]
	v_accvgpr_write_b32 a19, v19
	v_accvgpr_write_b32 a20, v30
	v_pk_fma_f32 v[18:19], v[196:197], s[30:31], v[28:29] op_sel:[0,0,1] op_sel_hi:[1,0,0]
	v_pk_fma_f32 v[30:31], v[196:197], s[30:31], v[28:29] op_sel:[0,0,1] op_sel_hi:[1,0,0] neg_lo:[0,0,1] neg_hi:[0,0,1]
	;; [unrolled: 12-line block ×3, first 2 shown]
	v_mov_b32_e32 v28, v18
	v_mov_b32_e32 v29, v31
	v_pk_add_f32 v[84:85], v[252:253], v[84:85]
	v_pk_add_f32 v[16:17], v[28:29], v[16:17]
	ds_write2_b64 v81, v[84:85], v[16:17] offset1:1
	v_pk_mul_f32 v[16:17], v[242:243], s[42:43] op_sel_hi:[1,0]
	v_accvgpr_write_b32 a23, v19
	v_pk_fma_f32 v[28:29], v[240:241], s[16:17], v[16:17] op_sel:[0,0,1] op_sel_hi:[1,0,0] neg_lo:[0,0,1] neg_hi:[0,0,1]
	v_pk_fma_f32 v[18:19], v[240:241], s[16:17], v[16:17] op_sel:[0,0,1] op_sel_hi:[1,0,0]
	v_mov_b32_e32 v17, v29
	v_accvgpr_write_b32 a26, v28
	v_pk_mul_f32 v[28:29], v[238:239], s[40:41] op_sel_hi:[1,0]
	v_accvgpr_write_b32 a24, v30
	v_mov_b32_e32 v16, v18
	v_accvgpr_write_b32 a25, v19
	v_pk_fma_f32 v[18:19], v[236:237], s[10:11], v[28:29] op_sel:[0,0,1] op_sel_hi:[1,0,0]
	v_pk_fma_f32 v[30:31], v[236:237], s[10:11], v[28:29] op_sel:[0,0,1] op_sel_hi:[1,0,0] neg_lo:[0,0,1] neg_hi:[0,0,1]
	v_pk_add_f32 v[16:17], v[56:57], v[16:17]
	v_mov_b32_e32 v28, v18
	v_mov_b32_e32 v29, v31
	v_pk_add_f32 v[16:17], v[28:29], v[16:17]
	v_pk_mul_f32 v[28:29], v[234:235], s[26:27] op_sel_hi:[1,0]
	v_accvgpr_write_b32 a27, v19
	v_accvgpr_write_b32 a28, v30
	v_pk_fma_f32 v[18:19], v[232:233], s[24:25], v[28:29] op_sel:[0,0,1] op_sel_hi:[1,0,0]
	v_pk_fma_f32 v[30:31], v[232:233], s[24:25], v[28:29] op_sel:[0,0,1] op_sel_hi:[1,0,0] neg_lo:[0,0,1] neg_hi:[0,0,1]
	v_mov_b32_e32 v28, v18
	v_mov_b32_e32 v29, v31
	v_pk_add_f32 v[16:17], v[28:29], v[16:17]
	v_pk_mul_f32 v[28:29], v[226:227], s[38:39] op_sel_hi:[1,0]
	v_accvgpr_write_b32 a29, v19
	v_accvgpr_write_b32 a30, v30
	v_pk_fma_f32 v[18:19], v[220:221], s[36:37], v[28:29] op_sel:[0,0,1] op_sel_hi:[1,0,0]
	v_pk_fma_f32 v[30:31], v[220:221], s[36:37], v[28:29] op_sel:[0,0,1] op_sel_hi:[1,0,0] neg_lo:[0,0,1] neg_hi:[0,0,1]
	v_mov_b32_e32 v28, v18
	v_mov_b32_e32 v29, v31
	s_mov_b32 s54, 0x3f06c442
	v_pk_add_f32 v[16:17], v[28:29], v[16:17]
	v_pk_mul_f32 v[28:29], v[214:215], s[54:55] op_sel_hi:[1,0]
	v_accvgpr_write_b32 a31, v19
	v_accvgpr_write_b32 a32, v30
	v_pk_fma_f32 v[18:19], v[212:213], s[30:31], v[28:29] op_sel:[0,0,1] op_sel_hi:[1,0,0]
	v_pk_fma_f32 v[30:31], v[212:213], s[30:31], v[28:29] op_sel:[0,0,1] op_sel_hi:[1,0,0] neg_lo:[0,0,1] neg_hi:[0,0,1]
	v_mov_b32_e32 v28, v18
	v_mov_b32_e32 v29, v31
	s_mov_b32 s52, 0x3f763a35
	v_pk_add_f32 v[16:17], v[28:29], v[16:17]
	v_pk_mul_f32 v[28:29], v[206:207], s[52:53] op_sel_hi:[1,0]
	v_accvgpr_write_b32 a33, v19
	v_pk_fma_f32 v[18:19], v[204:205], s[20:21], v[28:29] op_sel:[0,0,1] op_sel_hi:[1,0,0]
	v_pk_fma_f32 v[86:87], v[204:205], s[20:21], v[28:29] op_sel:[0,0,1] op_sel_hi:[1,0,0] neg_lo:[0,0,1] neg_hi:[0,0,1]
	v_mov_b32_e32 v28, v18
	v_mov_b32_e32 v29, v87
	s_mov_b32 s44, 0x3f65296c
	v_pk_add_f32 v[16:17], v[28:29], v[16:17]
	v_pk_mul_f32 v[28:29], v[198:199], s[44:45] op_sel_hi:[1,0]
	v_accvgpr_write_b32 a35, v19
	v_pk_fma_f32 v[18:19], v[196:197], s[14:15], v[28:29] op_sel:[0,0,1] op_sel_hi:[1,0,0]
	v_pk_fma_f32 v[76:77], v[196:197], s[14:15], v[28:29] op_sel:[0,0,1] op_sel_hi:[1,0,0] neg_lo:[0,0,1] neg_hi:[0,0,1]
	v_mov_b32_e32 v28, v18
	v_mov_b32_e32 v29, v77
	s_mov_b32 s46, 0x3eb8f4ab
	v_pk_add_f32 v[16:17], v[28:29], v[16:17]
	v_pk_mul_f32 v[28:29], v[68:69], s[46:47] op_sel_hi:[1,0]
	v_accvgpr_write_b32 a37, v19
	v_pk_fma_f32 v[18:19], v[188:189], s[18:19], v[28:29] op_sel:[0,0,1] op_sel_hi:[1,0,0]
	v_pk_fma_f32 v[72:73], v[188:189], s[18:19], v[28:29] op_sel:[0,0,1] op_sel_hi:[1,0,0] neg_lo:[0,0,1] neg_hi:[0,0,1]
	v_mov_b32_e32 v28, v18
	v_mov_b32_e32 v29, v73
	v_pk_add_f32 v[16:17], v[28:29], v[16:17]
	v_pk_mul_f32 v[28:29], v[242:243], s[50:51] op_sel_hi:[1,0]
	v_accvgpr_write_b32 a39, v19
	v_pk_fma_f32 v[18:19], v[240:241], s[14:15], v[28:29] op_sel:[0,0,1] op_sel_hi:[1,0,0]
	v_pk_fma_f32 v[182:183], v[240:241], s[14:15], v[28:29] op_sel:[0,0,1] op_sel_hi:[1,0,0] neg_lo:[0,0,1] neg_hi:[0,0,1]
	v_pk_mul_f32 v[58:59], v[238:239], s[26:27] op_sel_hi:[1,0]
	v_mov_b32_e32 v28, v18
	v_mov_b32_e32 v87, v19
	;; [unrolled: 1-line block ×3, first 2 shown]
	v_pk_fma_f32 v[18:19], v[236:237], s[24:25], v[58:59] op_sel:[0,0,1] op_sel_hi:[1,0,0]
	v_pk_fma_f32 v[186:187], v[236:237], s[24:25], v[58:59] op_sel:[0,0,1] op_sel_hi:[1,0,0] neg_lo:[0,0,1] neg_hi:[0,0,1]
	v_pk_add_f32 v[28:29], v[56:57], v[28:29]
	v_mov_b32_e32 v58, v18
	v_mov_b32_e32 v59, v187
	s_mov_b32 s48, 0x3e3c28d5
	v_pk_add_f32 v[28:29], v[58:59], v[28:29]
	v_pk_mul_f32 v[58:59], v[234:235], s[48:49] op_sel_hi:[1,0]
	v_accvgpr_write_b32 a41, v19
	v_pk_fma_f32 v[18:19], v[232:233], s[36:37], v[58:59] op_sel:[0,0,1] op_sel_hi:[1,0,0]
	v_pk_fma_f32 v[194:195], v[232:233], s[36:37], v[58:59] op_sel:[0,0,1] op_sel_hi:[1,0,0] neg_lo:[0,0,1] neg_hi:[0,0,1]
	v_mov_b32_e32 v58, v18
	v_mov_b32_e32 v59, v195
	v_pk_add_f32 v[28:29], v[58:59], v[28:29]
	v_pk_mul_f32 v[58:59], v[226:227], s[52:53] op_sel_hi:[1,0]
	v_accvgpr_write_b32 a43, v19
	v_pk_fma_f32 v[18:19], v[220:221], s[20:21], v[58:59] op_sel:[0,0,1] op_sel_hi:[1,0,0]
	v_pk_fma_f32 v[202:203], v[220:221], s[20:21], v[58:59] op_sel:[0,0,1] op_sel_hi:[1,0,0] neg_lo:[0,0,1] neg_hi:[0,0,1]
	v_mov_b32_e32 v58, v18
	v_mov_b32_e32 v59, v203
	s_mov_b32 s48, 0x3f2c7751
	v_pk_add_f32 v[28:29], v[58:59], v[28:29]
	v_pk_mul_f32 v[58:59], v[214:215], s[48:49] op_sel_hi:[1,0]
	v_accvgpr_write_b32 a45, v19
	v_pk_fma_f32 v[18:19], v[212:213], s[16:17], v[58:59] op_sel:[0,0,1] op_sel_hi:[1,0,0]
	v_pk_fma_f32 v[210:211], v[212:213], s[16:17], v[58:59] op_sel:[0,0,1] op_sel_hi:[1,0,0] neg_lo:[0,0,1] neg_hi:[0,0,1]
	v_mov_b32_e32 v58, v18
	v_mov_b32_e32 v59, v211
	v_pk_add_f32 v[28:29], v[58:59], v[28:29]
	v_pk_mul_f32 v[58:59], v[206:207], s[28:29] op_sel_hi:[1,0]
	v_accvgpr_write_b32 a47, v19
	v_pk_fma_f32 v[18:19], v[204:205], s[18:19], v[58:59] op_sel:[0,0,1] op_sel_hi:[1,0,0]
	v_pk_fma_f32 v[218:219], v[204:205], s[18:19], v[58:59] op_sel:[0,0,1] op_sel_hi:[1,0,0] neg_lo:[0,0,1] neg_hi:[0,0,1]
	v_mov_b32_e32 v58, v18
	v_mov_b32_e32 v59, v219
	;; [unrolled: 7-line block ×4, first 2 shown]
	v_pk_add_f32 v[28:29], v[58:59], v[28:29]
	ds_write2_b64 v81, v[16:17], v[28:29] offset0:2 offset1:3
	v_pk_mul_f32 v[16:17], v[242:243], s[40:41] op_sel_hi:[1,0]
	v_accvgpr_write_b32 a53, v19
	v_pk_fma_f32 v[18:19], v[240:241], s[10:11], v[16:17] op_sel:[0,0,1] op_sel_hi:[1,0,0]
	v_pk_fma_f32 v[246:247], v[240:241], s[10:11], v[16:17] op_sel:[0,0,1] op_sel_hi:[1,0,0] neg_lo:[0,0,1] neg_hi:[0,0,1]
	v_pk_mul_f32 v[28:29], v[238:239], s[38:39] op_sel_hi:[1,0]
	v_mov_b32_e32 v16, v18
	v_mov_b32_e32 v183, v19
	;; [unrolled: 1-line block ×3, first 2 shown]
	v_pk_fma_f32 v[18:19], v[236:237], s[36:37], v[28:29] op_sel:[0,0,1] op_sel_hi:[1,0,0]
	v_accvgpr_write_b32 a0, v250
	v_pk_fma_f32 v[250:251], v[236:237], s[36:37], v[28:29] op_sel:[0,0,1] op_sel_hi:[1,0,0] neg_lo:[0,0,1] neg_hi:[0,0,1]
	v_pk_add_f32 v[16:17], v[56:57], v[16:17]
	v_mov_b32_e32 v28, v18
	v_mov_b32_e32 v29, v251
	v_pk_add_f32 v[16:17], v[28:29], v[16:17]
	v_pk_mul_f32 v[28:29], v[234:235], s[52:53] op_sel_hi:[1,0]
	v_mov_b32_e32 v187, v19
	v_pk_fma_f32 v[18:19], v[232:233], s[20:21], v[28:29] op_sel:[0,0,1] op_sel_hi:[1,0,0]
	v_pk_fma_f32 v[254:255], v[232:233], s[20:21], v[28:29] op_sel:[0,0,1] op_sel_hi:[1,0,0] neg_lo:[0,0,1] neg_hi:[0,0,1]
	v_mov_b32_e32 v28, v18
	v_mov_b32_e32 v29, v255
	v_pk_add_f32 v[28:29], v[28:29], v[16:17]
	v_pk_mul_f32 v[16:17], v[226:227], s[46:47] op_sel_hi:[1,0]
	s_mov_b32 s56, 0x3f4c4adb
	v_pk_fma_f32 v[58:59], v[220:221], s[18:19], v[16:17] op_sel:[0,0,1] op_sel_hi:[1,0,0]
	v_pk_fma_f32 v[16:17], v[220:221], s[18:19], v[16:17] op_sel:[0,0,1] op_sel_hi:[1,0,0] neg_lo:[0,0,1] neg_hi:[0,0,1]
	v_mov_b32_e32 v203, v59
	v_mov_b32_e32 v59, v17
	v_pk_add_f32 v[58:59], v[58:59], v[28:29]
	v_pk_mul_f32 v[28:29], v[214:215], s[50:51] op_sel_hi:[1,0]
	v_accvgpr_write_b32 a8, v98
	v_pk_fma_f32 v[62:63], v[212:213], s[14:15], v[28:29] op_sel:[0,0,1] op_sel_hi:[1,0,0]
	v_pk_fma_f32 v[28:29], v[212:213], s[14:15], v[28:29] op_sel:[0,0,1] op_sel_hi:[1,0,0] neg_lo:[0,0,1] neg_hi:[0,0,1]
	v_mov_b32_e32 v211, v63
	v_mov_b32_e32 v63, v29
	v_pk_add_f32 v[62:63], v[62:63], v[58:59]
	v_pk_mul_f32 v[58:59], v[206:207], s[34:35] op_sel_hi:[1,0]
	v_accvgpr_write_b32 a9, v99
	v_pk_fma_f32 v[66:67], v[204:205], s[30:31], v[58:59] op_sel:[0,0,1] op_sel_hi:[1,0,0]
	v_pk_fma_f32 v[58:59], v[204:205], s[30:31], v[58:59] op_sel:[0,0,1] op_sel_hi:[1,0,0] neg_lo:[0,0,1] neg_hi:[0,0,1]
	v_mov_b32_e32 v219, v67
	v_mov_b32_e32 v67, v59
	v_pk_add_f32 v[66:67], v[66:67], v[62:63]
	v_pk_mul_f32 v[62:63], v[198:199], s[56:57] op_sel_hi:[1,0]
	v_pk_mul_f32 v[180:181], v[238:239], s[52:53] op_sel_hi:[1,0]
	v_pk_fma_f32 v[70:71], v[196:197], s[24:25], v[62:63] op_sel:[0,0,1] op_sel_hi:[1,0,0]
	v_pk_fma_f32 v[62:63], v[196:197], s[24:25], v[62:63] op_sel:[0,0,1] op_sel_hi:[1,0,0] neg_lo:[0,0,1] neg_hi:[0,0,1]
	v_mov_b32_e32 v225, v71
	v_mov_b32_e32 v71, v63
	v_pk_add_f32 v[70:71], v[70:71], v[66:67]
	v_pk_mul_f32 v[66:67], v[68:69], s[48:49] op_sel_hi:[1,0]
	v_mov_b32_e32 v17, v160
	v_pk_fma_f32 v[74:75], v[188:189], s[16:17], v[66:67] op_sel:[0,0,1] op_sel_hi:[1,0,0]
	v_pk_fma_f32 v[66:67], v[188:189], s[16:17], v[66:67] op_sel:[0,0,1] op_sel_hi:[1,0,0] neg_lo:[0,0,1] neg_hi:[0,0,1]
	v_mov_b32_e32 v231, v75
	v_mov_b32_e32 v75, v67
	v_pk_add_f32 v[252:253], v[74:75], v[70:71]
	v_pk_mul_f32 v[70:71], v[242:243], s[22:23] op_sel_hi:[1,0]
	v_mov_b32_e32 v29, v161
	;; [unrolled: 7-line block ×3, first 2 shown]
	v_pk_fma_f32 v[84:85], v[236:237], s[30:31], v[74:75] op_sel:[0,0,1] op_sel_hi:[1,0,0]
	v_pk_fma_f32 v[74:75], v[236:237], s[30:31], v[74:75] op_sel:[0,0,1] op_sel_hi:[1,0,0] neg_lo:[0,0,1] neg_hi:[0,0,1]
	v_mov_b32_e32 v251, v85
	v_mov_b32_e32 v85, v75
	v_pk_add_f32 v[176:177], v[84:85], v[78:79]
	v_pk_mul_f32 v[78:79], v[234:235], s[48:49] op_sel_hi:[1,0]
	v_pk_fma_f32 v[84:85], v[236:237], s[20:21], v[180:181] op_sel:[0,0,1] op_sel_hi:[1,0,0]
	v_pk_fma_f32 v[184:185], v[232:233], s[16:17], v[78:79] op_sel:[0,0,1] op_sel_hi:[1,0,0]
	v_pk_fma_f32 v[78:79], v[232:233], s[16:17], v[78:79] op_sel:[0,0,1] op_sel_hi:[1,0,0] neg_lo:[0,0,1] neg_hi:[0,0,1]
	v_mov_b32_e32 v255, v185
	v_mov_b32_e32 v185, v79
	v_pk_add_f32 v[192:193], v[184:185], v[176:177]
	v_pk_mul_f32 v[176:177], v[226:227], s[50:51] op_sel_hi:[1,0]
	s_mov_b32 s50, 0x3f7ee86f
	v_pk_fma_f32 v[200:201], v[220:221], s[14:15], v[176:177] op_sel:[0,0,1] op_sel_hi:[1,0,0]
	v_pk_fma_f32 v[176:177], v[220:221], s[14:15], v[176:177] op_sel:[0,0,1] op_sel_hi:[1,0,0] neg_lo:[0,0,1] neg_hi:[0,0,1]
	v_accvgpr_write_b32 a55, v201
	v_mov_b32_e32 v201, v177
	v_pk_add_f32 v[208:209], v[200:201], v[192:193]
	v_pk_mul_f32 v[192:193], v[214:215], s[38:39] op_sel_hi:[1,0]
	v_pk_fma_f32 v[180:181], v[236:237], s[20:21], v[180:181] op_sel:[0,0,1] op_sel_hi:[1,0,0] neg_lo:[0,0,1] neg_hi:[0,0,1]
	v_pk_fma_f32 v[216:217], v[212:213], s[36:37], v[192:193] op_sel:[0,0,1] op_sel_hi:[1,0,0]
	v_pk_fma_f32 v[192:193], v[212:213], s[36:37], v[192:193] op_sel:[0,0,1] op_sel_hi:[1,0,0] neg_lo:[0,0,1] neg_hi:[0,0,1]
	v_accvgpr_write_b32 a57, v217
	v_mov_b32_e32 v217, v193
	v_pk_add_f32 v[222:223], v[216:217], v[208:209]
	v_pk_mul_f32 v[208:209], v[206:207], s[50:51] op_sel_hi:[1,0]
	v_mov_b32_e32 v177, v85
	v_pk_fma_f32 v[228:229], v[204:205], s[10:11], v[208:209] op_sel:[0,0,1] op_sel_hi:[1,0,0]
	v_pk_fma_f32 v[208:209], v[204:205], s[10:11], v[208:209] op_sel:[0,0,1] op_sel_hi:[1,0,0] neg_lo:[0,0,1] neg_hi:[0,0,1]
	v_accvgpr_write_b32 a59, v229
	v_mov_b32_e32 v229, v209
	v_pk_add_f32 v[244:245], v[228:229], v[222:223]
	v_pk_mul_f32 v[222:223], v[198:199], s[28:29] op_sel_hi:[1,0]
	v_mov_b32_e32 v85, v181
	v_pk_fma_f32 v[248:249], v[196:197], s[18:19], v[222:223] op_sel:[0,0,1] op_sel_hi:[1,0,0]
	v_pk_fma_f32 v[222:223], v[196:197], s[18:19], v[222:223] op_sel:[0,0,1] op_sel_hi:[1,0,0] neg_lo:[0,0,1] neg_hi:[0,0,1]
	v_accvgpr_write_b32 a61, v249
	v_mov_b32_e32 v249, v223
	v_pk_add_f32 v[98:99], v[248:249], v[244:245]
	v_pk_mul_f32 v[244:245], v[68:69], s[26:27] op_sel_hi:[1,0]
	v_mov_b32_e32 v67, v165
	v_pk_fma_f32 v[248:249], v[188:189], s[24:25], v[244:245] op_sel:[0,0,1] op_sel_hi:[1,0,0]
	v_pk_fma_f32 v[244:245], v[188:189], s[24:25], v[244:245] op_sel:[0,0,1] op_sel_hi:[1,0,0] neg_lo:[0,0,1] neg_hi:[0,0,1]
	v_accvgpr_write_b32 a63, v249
	v_mov_b32_e32 v249, v245
	v_pk_add_f32 v[98:99], v[248:249], v[98:99]
	ds_write2_b64 v81, v[252:253], v[98:99] offset0:4 offset1:5
	v_pk_mul_f32 v[98:99], v[242:243], s[26:27] op_sel_hi:[1,0]
	v_mov_b32_e32 v73, v168
	v_pk_fma_f32 v[252:253], v[240:241], s[24:25], v[98:99] op_sel:[0,0,1] op_sel_hi:[1,0,0]
	v_pk_fma_f32 v[98:99], v[240:241], s[24:25], v[98:99] op_sel:[0,0,1] op_sel_hi:[1,0,0] neg_lo:[0,0,1] neg_hi:[0,0,1]
	v_mov_b32_e32 v79, v253
	v_mov_b32_e32 v253, v99
	v_pk_add_f32 v[252:253], v[56:57], v[252:253]
	v_mov_b32_e32 v75, v169
	v_pk_add_f32 v[84:85], v[84:85], v[252:253]
	v_pk_mul_f32 v[252:253], v[234:235], s[28:29] op_sel_hi:[1,0]
	v_accvgpr_write_b32 a2, v172
	v_pk_fma_f32 v[148:149], v[232:233], s[18:19], v[252:253] op_sel:[0,0,1] op_sel_hi:[1,0,0]
	v_pk_fma_f32 v[252:253], v[232:233], s[18:19], v[252:253] op_sel:[0,0,1] op_sel_hi:[1,0,0] neg_lo:[0,0,1] neg_hi:[0,0,1]
	v_mov_b32_e32 v193, v149
	v_mov_b32_e32 v149, v253
	v_pk_add_f32 v[84:85], v[148:149], v[84:85]
	v_pk_mul_f32 v[148:149], v[226:227], s[34:35] op_sel_hi:[1,0]
	v_accvgpr_write_b32 a3, v173
	v_pk_fma_f32 v[248:249], v[220:221], s[30:31], v[148:149] op_sel:[0,0,1] op_sel_hi:[1,0,0]
	v_pk_fma_f32 v[148:149], v[220:221], s[30:31], v[148:149] op_sel:[0,0,1] op_sel_hi:[1,0,0] neg_lo:[0,0,1] neg_hi:[0,0,1]
	v_mov_b32_e32 v152, v248
	v_mov_b32_e32 v153, v149
	v_pk_add_f32 v[84:85], v[152:153], v[84:85]
	v_pk_mul_f32 v[152:153], v[214:215], s[50:51] op_sel_hi:[1,0]
	v_pk_mul_f32 v[172:173], v[238:239], s[44:45] op_sel_hi:[1,0]
	v_pk_fma_f32 v[228:229], v[212:213], s[10:11], v[152:153] op_sel:[0,0,1] op_sel_hi:[1,0,0]
	v_pk_fma_f32 v[152:153], v[212:213], s[10:11], v[152:153] op_sel:[0,0,1] op_sel_hi:[1,0,0] neg_lo:[0,0,1] neg_hi:[0,0,1]
	v_mov_b32_e32 v156, v228
	v_mov_b32_e32 v157, v153
	v_pk_add_f32 v[84:85], v[156:157], v[84:85]
	v_pk_mul_f32 v[156:157], v[206:207], s[42:43] op_sel_hi:[1,0]
	v_mov_b32_e32 v195, v19
	v_pk_fma_f32 v[216:217], v[204:205], s[16:17], v[156:157] op_sel:[0,0,1] op_sel_hi:[1,0,0]
	v_pk_fma_f32 v[156:157], v[204:205], s[16:17], v[156:157] op_sel:[0,0,1] op_sel_hi:[1,0,0] neg_lo:[0,0,1] neg_hi:[0,0,1]
	v_mov_b32_e32 v160, v216
	v_mov_b32_e32 v161, v157
	v_pk_add_f32 v[84:85], v[160:161], v[84:85]
	v_pk_mul_f32 v[160:161], v[198:199], s[38:39] op_sel_hi:[1,0]
	v_pk_mul_f32 v[100:101], v[234:235], s[40:41] op_sel_hi:[1,0]
	v_pk_fma_f32 v[200:201], v[196:197], s[36:37], v[160:161] op_sel:[0,0,1] op_sel_hi:[1,0,0]
	v_pk_fma_f32 v[160:161], v[196:197], s[36:37], v[160:161] op_sel:[0,0,1] op_sel_hi:[1,0,0] neg_lo:[0,0,1] neg_hi:[0,0,1]
	v_mov_b32_e32 v164, v200
	v_mov_b32_e32 v165, v161
	v_pk_add_f32 v[84:85], v[164:165], v[84:85]
	v_pk_mul_f32 v[164:165], v[68:69], s[44:45] op_sel_hi:[1,0]
	v_pk_fma_f32 v[154:155], v[236:237], s[14:15], v[172:173] op_sel:[0,0,1] op_sel_hi:[1,0,0]
	v_pk_fma_f32 v[184:185], v[188:189], s[14:15], v[164:165] op_sel:[0,0,1] op_sel_hi:[1,0,0]
	v_pk_fma_f32 v[164:165], v[188:189], s[14:15], v[164:165] op_sel:[0,0,1] op_sel_hi:[1,0,0] neg_lo:[0,0,1] neg_hi:[0,0,1]
	v_mov_b32_e32 v168, v184
	v_mov_b32_e32 v169, v165
	v_pk_add_f32 v[84:85], v[168:169], v[84:85]
	v_pk_mul_f32 v[168:169], v[242:243], s[34:35] op_sel_hi:[1,0]
	v_pk_fma_f32 v[172:173], v[236:237], s[14:15], v[172:173] op_sel:[0,0,1] op_sel_hi:[1,0,0] neg_lo:[0,0,1] neg_hi:[0,0,1]
	v_pk_fma_f32 v[64:65], v[240:241], s[30:31], v[168:169] op_sel:[0,0,1] op_sel_hi:[1,0,0]
	v_pk_fma_f32 v[168:169], v[240:241], s[30:31], v[168:169] op_sel:[0,0,1] op_sel_hi:[1,0,0] neg_lo:[0,0,1] neg_hi:[0,0,1]
	v_mov_b32_e32 v18, v64
	v_mov_b32_e32 v19, v169
	v_pk_mul_f32 v[102:103], v[226:227], s[56:57] op_sel_hi:[1,0]
	v_pk_add_f32 v[18:19], v[56:57], v[18:19]
	v_mov_b32_e32 v150, v154
	v_mov_b32_e32 v151, v173
	v_pk_fma_f32 v[158:159], v[232:233], s[10:11], v[100:101] op_sel:[0,0,1] op_sel_hi:[1,0,0]
	v_pk_fma_f32 v[100:101], v[232:233], s[10:11], v[100:101] op_sel:[0,0,1] op_sel_hi:[1,0,0] neg_lo:[0,0,1] neg_hi:[0,0,1]
	v_accvgpr_write_b32 a34, v30
	v_pk_add_f32 v[18:19], v[150:151], v[18:19]
	v_mov_b32_e32 v150, v158
	v_mov_b32_e32 v151, v101
	;; [unrolled: 1-line block ×4, first 2 shown]
	v_pk_fma_f32 v[162:163], v[220:221], s[24:25], v[102:103] op_sel:[0,0,1] op_sel_hi:[1,0,0]
	v_pk_fma_f32 v[102:103], v[220:221], s[24:25], v[102:103] op_sel:[0,0,1] op_sel_hi:[1,0,0] neg_lo:[0,0,1] neg_hi:[0,0,1]
	v_pk_add_f32 v[18:19], v[150:151], v[18:19]
	v_mov_b32_e32 v150, v162
	v_mov_b32_e32 v151, v103
	v_pk_add_f32 v[18:19], v[150:151], v[18:19]
	v_pk_mul_f32 v[150:151], v[214:215], s[28:29] op_sel_hi:[1,0]
	v_mov_b32_e32 v162, v30
	v_mov_b32_e32 v30, v170
	;; [unrolled: 1-line block ×3, first 2 shown]
	v_pk_fma_f32 v[170:171], v[212:213], s[18:19], v[150:151] op_sel:[0,0,1] op_sel_hi:[1,0,0]
	v_pk_fma_f32 v[150:151], v[212:213], s[18:19], v[150:151] op_sel:[0,0,1] op_sel_hi:[1,0,0] neg_lo:[0,0,1] neg_hi:[0,0,1]
	v_mov_b32_e32 v64, v166
	v_mov_b32_e32 v166, v170
	;; [unrolled: 1-line block ×4, first 2 shown]
	v_pk_add_f32 v[18:19], v[166:167], v[18:19]
	v_pk_mul_f32 v[166:167], v[206:207], s[38:39] op_sel_hi:[1,0]
	v_accvgpr_write_b32 a4, v174
	v_pk_fma_f32 v[104:105], v[204:205], s[36:37], v[166:167] op_sel:[0,0,1] op_sel_hi:[1,0,0]
	v_pk_fma_f32 v[166:167], v[204:205], s[36:37], v[166:167] op_sel:[0,0,1] op_sel_hi:[1,0,0] neg_lo:[0,0,1] neg_hi:[0,0,1]
	v_accvgpr_write_b32 a5, v175
	v_mov_b32_e32 v174, v104
	v_mov_b32_e32 v175, v167
	v_pk_add_f32 v[18:19], v[174:175], v[18:19]
	v_pk_mul_f32 v[174:175], v[198:199], s[48:49] op_sel_hi:[1,0]
	v_mov_b32_e32 v170, v30
	v_pk_fma_f32 v[60:61], v[196:197], s[16:17], v[174:175] op_sel:[0,0,1] op_sel_hi:[1,0,0]
	v_pk_fma_f32 v[174:175], v[196:197], s[16:17], v[174:175] op_sel:[0,0,1] op_sel_hi:[1,0,0] neg_lo:[0,0,1] neg_hi:[0,0,1]
	v_mov_b32_e32 v30, v60
	v_mov_b32_e32 v31, v175
	v_pk_add_f32 v[18:19], v[30:31], v[18:19]
	v_pk_mul_f32 v[30:31], v[68:69], s[22:23] op_sel_hi:[1,0]
	v_pk_mul_f32 v[234:235], v[234:235], s[34:35] op_sel_hi:[1,0]
	v_pk_fma_f32 v[178:179], v[188:189], s[20:21], v[30:31] op_sel:[0,0,1] op_sel_hi:[1,0,0]
	v_pk_fma_f32 v[30:31], v[188:189], s[20:21], v[30:31] op_sel:[0,0,1] op_sel_hi:[1,0,0] neg_lo:[0,0,1] neg_hi:[0,0,1]
	v_mov_b32_e32 v108, v178
	v_mov_b32_e32 v109, v31
	v_pk_add_f32 v[18:19], v[108:109], v[18:19]
	ds_write2_b64 v81, v[84:85], v[18:19] offset0:6 offset1:7
	v_pk_mul_f32 v[18:19], v[242:243], s[38:39] op_sel_hi:[1,0]
	v_pk_mul_f32 v[108:109], v[238:239], s[46:47] op_sel_hi:[1,0]
	v_pk_fma_f32 v[84:85], v[240:241], s[36:37], v[18:19] op_sel:[0,0,1] op_sel_hi:[1,0,0]
	v_pk_fma_f32 v[18:19], v[240:241], s[36:37], v[18:19] op_sel:[0,0,1] op_sel_hi:[1,0,0] neg_lo:[0,0,1] neg_hi:[0,0,1]
	v_pk_fma_f32 v[238:239], v[236:237], s[18:19], v[108:109] op_sel:[0,0,1] op_sel_hi:[1,0,0]
	v_pk_fma_f32 v[108:109], v[236:237], s[18:19], v[108:109] op_sel:[0,0,1] op_sel_hi:[1,0,0] neg_lo:[0,0,1] neg_hi:[0,0,1]
	v_mov_b32_e32 v236, v84
	v_mov_b32_e32 v237, v19
	v_pk_add_f32 v[236:237], v[56:57], v[236:237]
	v_mov_b32_e32 v240, v238
	v_mov_b32_e32 v241, v109
	v_pk_add_f32 v[236:237], v[240:241], v[236:237]
	v_pk_fma_f32 v[240:241], v[232:233], s[30:31], v[234:235] op_sel:[0,0,1] op_sel_hi:[1,0,0]
	v_pk_fma_f32 v[232:233], v[232:233], s[30:31], v[234:235] op_sel:[0,0,1] op_sel_hi:[1,0,0] neg_lo:[0,0,1] neg_hi:[0,0,1]
	v_mov_b32_e32 v234, v240
	v_mov_b32_e32 v235, v233
	v_pk_mul_f32 v[226:227], v[226:227], s[48:49] op_sel_hi:[1,0]
	v_pk_add_f32 v[234:235], v[234:235], v[236:237]
	v_pk_fma_f32 v[236:237], v[220:221], s[16:17], v[226:227] op_sel:[0,0,1] op_sel_hi:[1,0,0]
	v_pk_fma_f32 v[220:221], v[220:221], s[16:17], v[226:227] op_sel:[0,0,1] op_sel_hi:[1,0,0] neg_lo:[0,0,1] neg_hi:[0,0,1]
	v_mov_b32_e32 v226, v236
	v_mov_b32_e32 v227, v221
	v_pk_mul_f32 v[214:215], v[214:215], s[26:27] op_sel_hi:[1,0]
	v_pk_add_f32 v[226:227], v[226:227], v[234:235]
	v_pk_fma_f32 v[234:235], v[212:213], s[24:25], v[214:215] op_sel:[0,0,1] op_sel_hi:[1,0,0]
	v_pk_fma_f32 v[212:213], v[212:213], s[24:25], v[214:215] op_sel:[0,0,1] op_sel_hi:[1,0,0] neg_lo:[0,0,1] neg_hi:[0,0,1]
	v_mov_b32_e32 v19, v85
	v_mov_b32_e32 v214, v234
	;; [unrolled: 1-line block ×3, first 2 shown]
	v_pk_mul_f32 v[206:207], v[206:207], s[44:45] op_sel_hi:[1,0]
	v_mov_b32_e32 v109, v239
	v_pk_add_f32 v[18:19], v[56:57], v[18:19]
	v_pk_add_f32 v[214:215], v[214:215], v[226:227]
	v_pk_fma_f32 v[226:227], v[204:205], s[14:15], v[206:207] op_sel:[0,0,1] op_sel_hi:[1,0,0]
	v_pk_fma_f32 v[204:205], v[204:205], s[14:15], v[206:207] op_sel:[0,0,1] op_sel_hi:[1,0,0] neg_lo:[0,0,1] neg_hi:[0,0,1]
	v_pk_add_f32 v[18:19], v[108:109], v[18:19]
	v_mov_b32_e32 v233, v241
	v_mov_b32_e32 v206, v226
	;; [unrolled: 1-line block ×3, first 2 shown]
	v_pk_mul_f32 v[198:199], v[198:199], s[22:23] op_sel_hi:[1,0]
	v_pk_add_f32 v[18:19], v[232:233], v[18:19]
	v_mov_b32_e32 v221, v237
	v_pk_add_f32 v[206:207], v[206:207], v[214:215]
	v_pk_fma_f32 v[214:215], v[196:197], s[20:21], v[198:199] op_sel:[0,0,1] op_sel_hi:[1,0,0]
	v_pk_fma_f32 v[196:197], v[196:197], s[20:21], v[198:199] op_sel:[0,0,1] op_sel_hi:[1,0,0] neg_lo:[0,0,1] neg_hi:[0,0,1]
	v_pk_add_f32 v[18:19], v[220:221], v[18:19]
	v_mov_b32_e32 v213, v235
	v_mov_b32_e32 v198, v214
	;; [unrolled: 1-line block ×3, first 2 shown]
	v_pk_mul_f32 v[68:69], v[68:69], s[50:51] op_sel_hi:[1,0]
	v_pk_add_f32 v[18:19], v[212:213], v[18:19]
	v_mov_b32_e32 v205, v227
	v_pk_add_f32 v[198:199], v[198:199], v[206:207]
	v_pk_fma_f32 v[206:207], v[188:189], s[10:11], v[68:69] op_sel:[0,0,1] op_sel_hi:[1,0,0]
	v_pk_fma_f32 v[68:69], v[188:189], s[10:11], v[68:69] op_sel:[0,0,1] op_sel_hi:[1,0,0] neg_lo:[0,0,1] neg_hi:[0,0,1]
	v_pk_add_f32 v[18:19], v[204:205], v[18:19]
	v_mov_b32_e32 v197, v215
	v_mov_b32_e32 v188, v206
	v_mov_b32_e32 v189, v69
	v_pk_add_f32 v[18:19], v[196:197], v[18:19]
	v_mov_b32_e32 v69, v207
	v_pk_add_f32 v[188:189], v[188:189], v[198:199]
	v_pk_add_f32 v[18:19], v[68:69], v[18:19]
	v_mov_b32_e32 v169, v65
	ds_write2_b64 v81, v[188:189], v[18:19] offset0:8 offset1:9
	v_pk_add_f32 v[18:19], v[56:57], v[168:169]
	v_mov_b32_e32 v173, v155
	v_pk_add_f32 v[18:19], v[172:173], v[18:19]
	v_mov_b32_e32 v101, v159
	;; [unrolled: 2-line block ×7, first 2 shown]
	v_mov_b32_e32 v99, v79
	v_pk_add_f32 v[18:19], v[30:31], v[18:19]
	v_pk_add_f32 v[30:31], v[56:57], v[98:99]
	v_mov_b32_e32 v181, v177
	v_pk_add_f32 v[30:31], v[180:181], v[30:31]
	v_mov_b32_e32 v253, v193
	;; [unrolled: 2-line block ×7, first 2 shown]
	v_mov_b32_e32 v167, v71
	v_pk_add_f32 v[30:31], v[164:165], v[30:31]
	v_mov_b32_e32 v71, v247
	v_mov_b32_e32 v247, v183
	;; [unrolled: 1-line block ×3, first 2 shown]
	ds_write2_b64 v81, v[18:19], v[30:31] offset0:10 offset1:11
	v_pk_add_f32 v[18:19], v[56:57], v[70:71]
	v_mov_b32_e32 v75, v251
	v_pk_add_f32 v[30:31], v[56:57], v[246:247]
	v_mov_b32_e32 v251, v187
	;; [unrolled: 2-line block ×4, first 2 shown]
	v_mov_b32_e32 v160, v17
	v_pk_add_f32 v[18:19], v[78:79], v[18:19]
	v_accvgpr_read_b32 v177, a55
	v_pk_add_f32 v[30:31], v[254:255], v[30:31]
	v_mov_b32_e32 v17, v203
	v_mov_b32_e32 v161, v29
	v_pk_add_f32 v[18:19], v[176:177], v[18:19]
	v_accvgpr_read_b32 v193, a57
	v_pk_add_f32 v[16:17], v[16:17], v[30:31]
	v_mov_b32_e32 v29, v211
	;; [unrolled: 5-line block ×5, first 2 shown]
	v_pk_add_f32 v[18:19], v[244:245], v[18:19]
	v_pk_add_f32 v[16:17], v[66:67], v[16:17]
	ds_write2_b64 v81, v[18:19], v[16:17] offset0:12 offset1:13
	v_mov_b32_e32 v183, v87
	v_accvgpr_read_b32 v18, a26
	v_accvgpr_read_b32 v19, a25
	v_pk_add_f32 v[16:17], v[56:57], v[182:183]
	v_accvgpr_read_b32 v187, a41
	v_pk_add_f32 v[18:19], v[56:57], v[18:19]
	v_accvgpr_read_b32 v28, a28
	v_accvgpr_read_b32 v29, a27
	v_pk_add_f32 v[16:17], v[186:187], v[16:17]
	v_accvgpr_read_b32 v195, a43
	v_pk_add_f32 v[18:19], v[28:29], v[18:19]
	;; [unrolled: 5-line block ×5, first 2 shown]
	v_accvgpr_read_b32 v87, a35
	v_mov_b32_e32 v171, v77
	v_pk_add_f32 v[16:17], v[218:219], v[16:17]
	v_accvgpr_read_b32 v225, a51
	v_pk_add_f32 v[18:19], v[86:87], v[18:19]
	v_accvgpr_read_b32 v77, a37
	v_mov_b32_e32 v168, v73
	v_pk_add_f32 v[16:17], v[224:225], v[16:17]
	v_accvgpr_read_b32 v231, a53
	v_pk_add_f32 v[18:19], v[76:77], v[18:19]
	v_accvgpr_read_b32 v73, a39
	v_pk_add_f32 v[16:17], v[230:231], v[16:17]
	v_pk_add_f32 v[18:19], v[72:73], v[18:19]
	ds_write2_b64 v81, v[16:17], v[18:19] offset0:14 offset1:15
	v_accvgpr_read_b32 v16, a10
	v_accvgpr_read_b32 v17, a1
	v_pk_add_f32 v[16:17], v[56:57], v[16:17]
	v_accvgpr_read_b32 v18, a12
	v_accvgpr_read_b32 v19, a11
	v_pk_add_f32 v[16:17], v[18:19], v[16:17]
	v_accvgpr_read_b32 v18, a14
	v_accvgpr_read_b32 v19, a13
	v_pk_add_f32 v[16:17], v[18:19], v[16:17]
	v_accvgpr_read_b32 v18, a16
	v_accvgpr_read_b32 v19, a15
	v_pk_add_f32 v[16:17], v[18:19], v[16:17]
	v_accvgpr_read_b32 v18, a18
	v_accvgpr_read_b32 v19, a17
	v_pk_add_f32 v[16:17], v[18:19], v[16:17]
	v_accvgpr_read_b32 v18, a20
	v_accvgpr_read_b32 v19, a19
	v_pk_add_f32 v[16:17], v[18:19], v[16:17]
	v_accvgpr_read_b32 v18, a22
	v_accvgpr_read_b32 v19, a21
	v_accvgpr_read_b32 v173, a3
	v_accvgpr_read_b32 v175, a5
	v_accvgpr_read_b32 v99, a9
	v_accvgpr_read_b32 v87, a7
	v_pk_add_f32 v[16:17], v[18:19], v[16:17]
	v_accvgpr_read_b32 v18, a24
	v_accvgpr_read_b32 v19, a23
	;; [unrolled: 1-line block ×3, first 2 shown]
	v_mov_b32_e32 v166, v64
	v_accvgpr_read_b32 v174, a4
	v_accvgpr_read_b32 v98, a8
	;; [unrolled: 1-line block ×4, first 2 shown]
	v_pk_add_f32 v[16:17], v[18:19], v[16:17]
	ds_write_b64 v81, v[16:17] offset:128
.LBB0_13:
	s_or_b64 exec, exec, s[0:1]
	v_add_u32_e32 v74, 0x1c00, v83
	s_waitcnt lgkmcnt(0)
	s_barrier
	ds_read2_b64 v[16:19], v74 offset0:22 offset1:175
	v_add_u32_e32 v76, 0x2e00, v83
	ds_read2_b64 v[56:59], v76 offset0:58 offset1:211
	v_add_u32_e32 v75, 0x800, v83
	ds_read2_b64 v[28:31], v75 offset0:50 offset1:203
	s_waitcnt lgkmcnt(2)
	v_pk_mul_f32 v[12:13], v[12:13], v[18:19]
	v_pk_mul_f32 v[8:9], v[8:9], v[16:17]
	v_pk_fma_f32 v[60:61], v[146:147], v[18:19], v[12:13] op_sel:[0,0,1] op_sel_hi:[1,1,0]
	v_pk_fma_f32 v[12:13], v[146:147], v[18:19], v[12:13] op_sel:[0,0,1] op_sel_hi:[1,1,0] neg_lo:[0,0,1] neg_hi:[0,0,1]
	v_pk_fma_f32 v[66:67], v[142:143], v[16:17], v[8:9] op_sel:[0,0,1] op_sel_hi:[1,1,0]
	v_mov_b32_e32 v61, v13
	s_waitcnt lgkmcnt(1)
	v_pk_mul_f32 v[12:13], v[14:15], v[58:59]
	v_pk_fma_f32 v[8:9], v[142:143], v[16:17], v[8:9] op_sel:[0,0,1] op_sel_hi:[1,1,0] neg_lo:[0,0,1] neg_hi:[0,0,1]
	v_pk_fma_f32 v[62:63], v[144:145], v[58:59], v[12:13] op_sel:[0,0,1] op_sel_hi:[1,1,0]
	v_pk_fma_f32 v[12:13], v[144:145], v[58:59], v[12:13] op_sel:[0,0,1] op_sel_hi:[1,1,0] neg_lo:[0,0,1] neg_hi:[0,0,1]
	v_mov_b32_e32 v67, v9
	v_pk_mul_f32 v[8:9], v[10:11], v[56:57]
	v_mov_b32_e32 v63, v13
	v_pk_fma_f32 v[68:69], v[140:141], v[56:57], v[8:9] op_sel:[0,0,1] op_sel_hi:[1,1,0]
	v_pk_fma_f32 v[8:9], v[140:141], v[56:57], v[8:9] op_sel:[0,0,1] op_sel_hi:[1,1,0] neg_lo:[0,0,1] neg_hi:[0,0,1]
	v_pk_add_f32 v[12:13], v[60:61], v[62:63]
	v_pk_add_f32 v[14:15], v[60:61], v[62:63] neg_lo:[0,1] neg_hi:[0,1]
	s_mov_b32 s0, 0x3f5db3d7
	v_mov_b32_e32 v69, v9
	s_waitcnt lgkmcnt(0)
	v_pk_fma_f32 v[12:13], v[12:13], 0.5, v[30:31] op_sel_hi:[1,0,1] neg_lo:[1,0,0] neg_hi:[1,0,0]
	v_pk_mul_f32 v[14:15], v[14:15], s[0:1] op_sel_hi:[1,0]
	v_pk_add_f32 v[8:9], v[66:67], v[68:69]
	v_pk_add_f32 v[58:59], v[12:13], v[14:15] op_sel:[0,1] op_sel_hi:[1,0]
	v_pk_add_f32 v[64:65], v[12:13], v[14:15] op_sel:[0,1] op_sel_hi:[1,0] neg_lo:[0,1] neg_hi:[0,1]
	v_pk_fma_f32 v[12:13], v[8:9], 0.5, v[28:29] op_sel_hi:[1,0,1] neg_lo:[1,0,0] neg_hi:[1,0,0]
	v_pk_add_f32 v[8:9], v[66:67], v[68:69] neg_lo:[0,1] neg_hi:[0,1]
	v_add_u32_e32 v77, 0x1000, v83
	v_pk_mul_f32 v[14:15], v[8:9], s[0:1] op_sel_hi:[1,0]
	ds_read2_b64 v[8:11], v77 offset0:100 offset1:253
	v_add_u32_e32 v78, 0x2400, v83
	ds_read2_b64 v[16:19], v78 offset0:72 offset1:225
	v_pk_add_f32 v[56:57], v[12:13], v[14:15] op_sel:[0,1] op_sel_hi:[1,0]
	v_pk_add_f32 v[70:71], v[12:13], v[14:15] op_sel:[0,1] op_sel_hi:[1,0] neg_lo:[0,1] neg_hi:[0,1]
	s_waitcnt lgkmcnt(1)
	v_pk_mul_f32 v[4:5], v[4:5], v[10:11]
	ds_read2_b64 v[12:15], v83 offset1:153
	v_pk_fma_f32 v[72:73], v[138:139], v[10:11], v[4:5] op_sel:[0,0,1] op_sel_hi:[1,1,0]
	v_pk_fma_f32 v[4:5], v[138:139], v[10:11], v[4:5] op_sel:[0,0,1] op_sel_hi:[1,1,0] neg_lo:[0,0,1] neg_hi:[0,0,1]
	v_pk_mul_f32 v[0:1], v[0:1], v[8:9]
	v_mov_b32_e32 v73, v5
	s_waitcnt lgkmcnt(1)
	v_pk_mul_f32 v[4:5], v[6:7], v[18:19]
	s_waitcnt lgkmcnt(0)
	v_pk_fma_f32 v[6:7], v[136:137], v[18:19], v[4:5] op_sel:[0,0,1] op_sel_hi:[1,1,0]
	v_pk_fma_f32 v[4:5], v[136:137], v[18:19], v[4:5] op_sel:[0,0,1] op_sel_hi:[1,1,0] neg_lo:[0,0,1] neg_hi:[0,0,1]
	s_barrier
	v_mov_b32_e32 v7, v5
	v_pk_add_f32 v[4:5], v[72:73], v[6:7]
	v_pk_add_f32 v[10:11], v[72:73], v[6:7] neg_lo:[0,1] neg_hi:[0,1]
	v_pk_fma_f32 v[4:5], v[4:5], 0.5, v[14:15] op_sel_hi:[1,0,1] neg_lo:[1,0,0] neg_hi:[1,0,0]
	v_pk_mul_f32 v[10:11], v[10:11], s[0:1] op_sel_hi:[1,0]
	s_nop 0
	v_pk_add_f32 v[18:19], v[4:5], v[10:11] op_sel:[0,1] op_sel_hi:[1,0]
	v_pk_add_f32 v[4:5], v[4:5], v[10:11] op_sel:[0,1] op_sel_hi:[1,0] neg_lo:[0,1] neg_hi:[0,1]
	v_pk_fma_f32 v[10:11], v[134:135], v[8:9], v[0:1] op_sel:[0,0,1] op_sel_hi:[1,1,0]
	v_pk_fma_f32 v[0:1], v[134:135], v[8:9], v[0:1] op_sel:[0,0,1] op_sel_hi:[1,1,0] neg_lo:[0,0,1] neg_hi:[0,0,1]
	s_mov_b32 s16, 0.5
	v_mov_b32_e32 v11, v1
	v_pk_mul_f32 v[0:1], v[2:3], v[16:17]
	s_mov_b32 s17, s0
	v_pk_fma_f32 v[2:3], v[132:133], v[16:17], v[0:1] op_sel:[0,0,1] op_sel_hi:[1,1,0]
	v_pk_fma_f32 v[0:1], v[132:133], v[16:17], v[0:1] op_sel:[0,0,1] op_sel_hi:[1,1,0] neg_lo:[0,0,1] neg_hi:[0,0,1]
	s_mov_b32 s10, -0.5
	v_mov_b32_e32 v3, v1
	v_pk_add_f32 v[0:1], v[12:13], v[10:11]
	v_pk_add_f32 v[8:9], v[10:11], v[2:3]
	;; [unrolled: 1-line block ×3, first 2 shown]
	v_pk_add_f32 v[2:3], v[10:11], v[2:3] neg_lo:[0,1] neg_hi:[0,1]
	v_pk_fma_f32 v[8:9], v[8:9], 0.5, v[12:13] op_sel_hi:[1,0,1] neg_lo:[1,0,0] neg_hi:[1,0,0]
	v_pk_mul_f32 v[2:3], v[2:3], s[0:1] op_sel_hi:[1,0]
	s_mov_b32 s11, s0
	v_pk_add_f32 v[10:11], v[8:9], v[2:3] op_sel:[0,1] op_sel_hi:[1,0] neg_lo:[0,1] neg_hi:[0,1]
	v_pk_add_f32 v[2:3], v[8:9], v[2:3] op_sel:[0,1] op_sel_hi:[1,0]
	v_mov_b32_e32 v8, v10
	v_mov_b32_e32 v9, v3
	ds_write2_b64 v163, v[0:1], v[8:9] offset1:17
	v_mov_b32_e32 v3, v11
	v_pk_add_f32 v[0:1], v[14:15], v[72:73]
	ds_write_b64 v163, v[2:3] offset:272
	v_pk_add_f32 v[0:1], v[0:1], v[6:7]
	v_mov_b32_e32 v2, v4
	v_mov_b32_e32 v3, v19
	ds_write2_b64 v162, v[0:1], v[2:3] offset1:17
	v_pk_add_f32 v[0:1], v[28:29], v[66:67]
	v_mov_b32_e32 v19, v5
	v_pk_add_f32 v[0:1], v[0:1], v[68:69]
	v_mov_b32_e32 v2, v70
	v_mov_b32_e32 v3, v57
	ds_write_b64 v162, v[18:19] offset:272
	ds_write2_b64 v161, v[0:1], v[2:3] offset1:17
	v_pk_add_f32 v[0:1], v[30:31], v[60:61]
	v_mov_b32_e32 v57, v71
	v_pk_add_f32 v[0:1], v[0:1], v[62:63]
	v_mov_b32_e32 v2, v64
	v_mov_b32_e32 v3, v59
	;; [unrolled: 1-line block ×3, first 2 shown]
	ds_write_b64 v161, v[56:57] offset:272
	ds_write2_b64 v160, v[0:1], v[2:3] offset1:17
	ds_write_b64 v160, v[58:59] offset:272
	s_waitcnt lgkmcnt(0)
	s_barrier
	ds_read2_b64 v[0:3], v74 offset0:22 offset1:175
	ds_read2_b64 v[4:7], v75 offset0:50 offset1:203
	ds_read2_b64 v[8:11], v76 offset0:58 offset1:211
	s_movk_i32 s14, 0x1000
	s_waitcnt lgkmcnt(2)
	v_pk_mul_f32 v[12:13], v[36:37], v[2:3]
	s_nop 0
	v_pk_fma_f32 v[16:17], v[130:131], v[2:3], v[12:13] op_sel:[0,0,1] op_sel_hi:[1,1,0]
	v_pk_fma_f32 v[2:3], v[130:131], v[2:3], v[12:13] op_sel:[0,0,1] op_sel_hi:[1,1,0] neg_lo:[0,0,1] neg_hi:[0,0,1]
	s_nop 0
	v_mov_b32_e32 v17, v3
	s_waitcnt lgkmcnt(0)
	v_pk_mul_f32 v[2:3], v[38:39], v[10:11]
	s_nop 0
	v_pk_fma_f32 v[18:19], v[128:129], v[10:11], v[2:3] op_sel:[0,0,1] op_sel_hi:[1,1,0]
	v_pk_fma_f32 v[2:3], v[128:129], v[10:11], v[2:3] op_sel:[0,0,1] op_sel_hi:[1,1,0] neg_lo:[0,0,1] neg_hi:[0,0,1]
	s_nop 0
	v_mov_b32_e32 v19, v3
	v_pk_add_f32 v[2:3], v[16:17], v[18:19]
	v_pk_add_f32 v[10:11], v[16:17], v[18:19] neg_lo:[0,1] neg_hi:[0,1]
	v_pk_fma_f32 v[2:3], v[2:3], 0.5, v[6:7] op_sel_hi:[1,0,1] neg_lo:[1,0,0] neg_hi:[1,0,0]
	v_pk_mul_f32 v[10:11], v[10:11], s[0:1] op_sel_hi:[1,0]
	s_nop 0
	v_pk_add_f32 v[28:29], v[2:3], v[10:11] op_sel:[0,1] op_sel_hi:[1,0]
	v_pk_add_f32 v[30:31], v[2:3], v[10:11] op_sel:[0,1] op_sel_hi:[1,0] neg_lo:[0,1] neg_hi:[0,1]
	v_pk_mul_f32 v[2:3], v[32:33], v[0:1]
	s_nop 0
	v_pk_fma_f32 v[32:33], v[126:127], v[0:1], v[2:3] op_sel:[0,0,1] op_sel_hi:[1,1,0]
	v_pk_fma_f32 v[0:1], v[126:127], v[0:1], v[2:3] op_sel:[0,0,1] op_sel_hi:[1,1,0] neg_lo:[0,0,1] neg_hi:[0,0,1]
	s_nop 0
	v_mov_b32_e32 v33, v1
	v_pk_mul_f32 v[0:1], v[34:35], v[8:9]
	s_nop 0
	v_pk_fma_f32 v[34:35], v[124:125], v[8:9], v[0:1] op_sel:[0,0,1] op_sel_hi:[1,1,0]
	v_pk_fma_f32 v[0:1], v[124:125], v[8:9], v[0:1] op_sel:[0,0,1] op_sel_hi:[1,1,0] neg_lo:[0,0,1] neg_hi:[0,0,1]
	s_nop 0
	v_mov_b32_e32 v35, v1
	v_pk_add_f32 v[0:1], v[32:33], v[34:35]
	s_nop 0
	v_pk_fma_f32 v[8:9], v[0:1], 0.5, v[4:5] op_sel_hi:[1,0,1] neg_lo:[1,0,0] neg_hi:[1,0,0]
	v_pk_add_f32 v[0:1], v[32:33], v[34:35] neg_lo:[0,1] neg_hi:[0,1]
	s_nop 0
	v_pk_mul_f32 v[10:11], v[0:1], s[0:1] op_sel_hi:[1,0]
	ds_read2_b64 v[0:3], v77 offset0:100 offset1:253
	v_pk_add_f32 v[36:37], v[8:9], v[10:11] op_sel:[0,1] op_sel_hi:[1,0]
	v_pk_add_f32 v[38:39], v[8:9], v[10:11] op_sel:[0,1] op_sel_hi:[1,0] neg_lo:[0,1] neg_hi:[0,1]
	ds_read2_b64 v[8:11], v83 offset1:153
	ds_read2_b64 v[12:15], v78 offset0:72 offset1:225
	s_waitcnt lgkmcnt(0)
	v_pk_mul_f32 v[24:25], v[24:25], v[2:3]
	s_barrier
	v_pk_fma_f32 v[56:57], v[122:123], v[2:3], v[24:25] op_sel:[0,0,1] op_sel_hi:[1,1,0]
	v_pk_fma_f32 v[2:3], v[122:123], v[2:3], v[24:25] op_sel:[0,0,1] op_sel_hi:[1,1,0] neg_lo:[0,0,1] neg_hi:[0,0,1]
	s_nop 0
	v_mov_b32_e32 v57, v3
	v_pk_mul_f32 v[2:3], v[26:27], v[14:15]
	s_nop 0
	v_pk_fma_f32 v[24:25], v[120:121], v[14:15], v[2:3] op_sel:[0,0,1] op_sel_hi:[1,1,0]
	v_pk_fma_f32 v[2:3], v[120:121], v[14:15], v[2:3] op_sel:[0,0,1] op_sel_hi:[1,1,0] neg_lo:[0,0,1] neg_hi:[0,0,1]
	s_nop 0
	v_mov_b32_e32 v25, v3
	v_pk_add_f32 v[2:3], v[56:57], v[24:25]
	v_pk_add_f32 v[14:15], v[56:57], v[24:25] neg_lo:[0,1] neg_hi:[0,1]
	v_pk_fma_f32 v[2:3], v[2:3], 0.5, v[10:11] op_sel_hi:[1,0,1] neg_lo:[1,0,0] neg_hi:[1,0,0]
	v_pk_mul_f32 v[14:15], v[14:15], s[0:1] op_sel_hi:[1,0]
	s_nop 0
	v_pk_add_f32 v[26:27], v[2:3], v[14:15] op_sel:[0,1] op_sel_hi:[1,0]
	v_pk_add_f32 v[2:3], v[2:3], v[14:15] op_sel:[0,1] op_sel_hi:[1,0] neg_lo:[0,1] neg_hi:[0,1]
	v_pk_mul_f32 v[14:15], v[20:21], v[0:1]
	s_nop 0
	v_pk_fma_f32 v[20:21], v[118:119], v[0:1], v[14:15] op_sel:[0,0,1] op_sel_hi:[1,1,0]
	v_pk_fma_f32 v[0:1], v[118:119], v[0:1], v[14:15] op_sel:[0,0,1] op_sel_hi:[1,1,0] neg_lo:[0,0,1] neg_hi:[0,0,1]
	s_nop 0
	v_mov_b32_e32 v21, v1
	v_pk_mul_f32 v[0:1], v[22:23], v[12:13]
	s_nop 0
	v_pk_fma_f32 v[14:15], v[116:117], v[12:13], v[0:1] op_sel:[0,0,1] op_sel_hi:[1,1,0]
	v_pk_fma_f32 v[0:1], v[116:117], v[12:13], v[0:1] op_sel:[0,0,1] op_sel_hi:[1,1,0] neg_lo:[0,0,1] neg_hi:[0,0,1]
	s_nop 0
	v_mov_b32_e32 v15, v1
	v_pk_add_f32 v[12:13], v[20:21], v[14:15]
	v_pk_add_f32 v[0:1], v[8:9], v[20:21]
	v_pk_fma_f32 v[8:9], v[12:13], 0.5, v[8:9] op_sel_hi:[1,0,1] neg_lo:[1,0,0] neg_hi:[1,0,0]
	v_pk_add_f32 v[12:13], v[20:21], v[14:15] neg_lo:[0,1] neg_hi:[0,1]
	v_pk_add_f32 v[0:1], v[0:1], v[14:15]
	v_pk_mul_f32 v[12:13], v[12:13], s[0:1] op_sel_hi:[1,0]
	s_nop 0
	v_pk_add_f32 v[14:15], v[8:9], v[12:13] op_sel:[0,1] op_sel_hi:[1,0] neg_lo:[0,1] neg_hi:[0,1]
	v_pk_add_f32 v[8:9], v[8:9], v[12:13] op_sel:[0,1] op_sel_hi:[1,0]
	v_mov_b32_e32 v12, v14
	v_mov_b32_e32 v13, v9
	ds_write2_b64 v167, v[0:1], v[12:13] offset1:51
	v_mov_b32_e32 v9, v15
	v_pk_add_f32 v[0:1], v[10:11], v[56:57]
	ds_write_b64 v167, v[8:9] offset:816
	v_pk_add_f32 v[0:1], v[0:1], v[24:25]
	v_mov_b32_e32 v8, v2
	v_mov_b32_e32 v9, v27
	ds_write2_b64 v166, v[0:1], v[8:9] offset1:51
	v_pk_add_f32 v[0:1], v[4:5], v[32:33]
	v_mov_b32_e32 v27, v3
	v_pk_add_f32 v[0:1], v[0:1], v[34:35]
	v_mov_b32_e32 v2, v38
	v_mov_b32_e32 v3, v37
	ds_write_b64 v166, v[26:27] offset:816
	ds_write2_b64 v165, v[0:1], v[2:3] offset1:51
	v_pk_add_f32 v[0:1], v[6:7], v[16:17]
	v_mov_b32_e32 v37, v39
	v_pk_add_f32 v[0:1], v[0:1], v[18:19]
	v_mov_b32_e32 v2, v30
	v_mov_b32_e32 v3, v29
	;; [unrolled: 1-line block ×3, first 2 shown]
	ds_write_b64 v165, v[36:37] offset:816
	ds_write2_b64 v164, v[0:1], v[2:3] offset1:51
	ds_write_b64 v164, v[28:29] offset:816
	s_waitcnt lgkmcnt(0)
	s_barrier
	ds_read2_b64 v[0:3], v74 offset0:22 offset1:175
	ds_read2_b64 v[4:7], v83 offset1:153
	s_waitcnt lgkmcnt(1)
	v_pk_mul_f32 v[8:9], v[88:89], v[0:1]
	s_nop 0
	v_pk_fma_f32 v[12:13], v[106:107], v[0:1], v[8:9] op_sel:[0,0,1] op_sel_hi:[1,1,0]
	v_pk_fma_f32 v[0:1], v[106:107], v[0:1], v[8:9] op_sel:[0,0,1] op_sel_hi:[1,1,0] neg_lo:[0,0,1] neg_hi:[0,0,1]
	ds_read2_b64 v[8:11], v76 offset0:58 offset1:211
	v_mov_b32_e32 v13, v1
	s_waitcnt lgkmcnt(1)
	v_pk_add_f32 v[0:1], v[4:5], v[12:13] neg_lo:[0,1] neg_hi:[0,1]
	ds_read2_b64 v[12:15], v77 offset0:100 offset1:253
	v_pk_fma_f32 v[4:5], v[4:5], 2.0, v[0:1] op_sel_hi:[1,0,1] neg_lo:[0,0,1] neg_hi:[0,0,1]
	s_waitcnt lgkmcnt(1)
	v_pk_mul_f32 v[16:17], v[96:97], v[10:11]
	s_nop 0
	v_pk_fma_f32 v[18:19], v[114:115], v[10:11], v[16:17] op_sel:[0,0,1] op_sel_hi:[1,1,0]
	v_pk_fma_f32 v[10:11], v[114:115], v[10:11], v[16:17] op_sel:[0,0,1] op_sel_hi:[1,1,0] neg_lo:[0,0,1] neg_hi:[0,0,1]
	s_nop 0
	v_mov_b32_e32 v19, v11
	s_waitcnt lgkmcnt(0)
	v_pk_add_f32 v[20:21], v[14:15], v[18:19] neg_lo:[0,1] neg_hi:[0,1]
	ds_read2_b64 v[16:19], v78 offset0:72 offset1:225
	v_pk_mul_f32 v[10:11], v[94:95], v[8:9]
	s_waitcnt lgkmcnt(0)
	v_pk_mul_f32 v[24:25], v[92:93], v[18:19]
	v_pk_fma_f32 v[22:23], v[112:113], v[8:9], v[10:11] op_sel:[0,0,1] op_sel_hi:[1,1,0]
	v_pk_fma_f32 v[8:9], v[112:113], v[8:9], v[10:11] op_sel:[0,0,1] op_sel_hi:[1,1,0] neg_lo:[0,0,1] neg_hi:[0,0,1]
	v_pk_fma_f32 v[26:27], v[110:111], v[18:19], v[24:25] op_sel:[0,0,1] op_sel_hi:[1,1,0]
	v_mov_b32_e32 v23, v9
	ds_read2_b64 v[8:11], v75 offset0:50 offset1:203
	v_pk_fma_f32 v[18:19], v[110:111], v[18:19], v[24:25] op_sel:[0,0,1] op_sel_hi:[1,1,0] neg_lo:[0,0,1] neg_hi:[0,0,1]
	v_pk_mul_f32 v[24:25], v[90:91], v[16:17]
	v_mov_b32_e32 v27, v19
	s_waitcnt lgkmcnt(0)
	v_pk_add_f32 v[18:19], v[10:11], v[26:27] neg_lo:[0,1] neg_hi:[0,1]
	v_pk_fma_f32 v[26:27], v[190:191], v[16:17], v[24:25] op_sel:[0,0,1] op_sel_hi:[1,1,0]
	v_pk_fma_f32 v[16:17], v[190:191], v[16:17], v[24:25] op_sel:[0,0,1] op_sel_hi:[1,1,0] neg_lo:[0,0,1] neg_hi:[0,0,1]
	v_pk_mul_f32 v[24:25], v[88:89], v[2:3]
	v_mov_b32_e32 v27, v17
	v_pk_add_f32 v[16:17], v[8:9], v[26:27] neg_lo:[0,1] neg_hi:[0,1]
	v_pk_fma_f32 v[26:27], v[106:107], v[2:3], v[24:25] op_sel:[0,0,1] op_sel_hi:[1,1,0]
	v_pk_fma_f32 v[2:3], v[106:107], v[2:3], v[24:25] op_sel:[0,0,1] op_sel_hi:[1,1,0] neg_lo:[0,0,1] neg_hi:[0,0,1]
	s_barrier
	v_mov_b32_e32 v27, v3
	v_pk_add_f32 v[2:3], v[6:7], v[26:27] neg_lo:[0,1] neg_hi:[0,1]
	ds_write2_b64 v83, v[4:5], v[0:1] offset1:153
	v_pk_fma_f32 v[0:1], v[6:7], 2.0, v[2:3] op_sel_hi:[1,0,1] neg_lo:[0,0,1] neg_hi:[0,0,1]
	ds_write2_b64 v75, v[0:1], v[2:3] offset0:50 offset1:203
	v_pk_fma_f32 v[0:1], v[8:9], 2.0, v[16:17] op_sel_hi:[1,0,1] neg_lo:[0,0,1] neg_hi:[0,0,1]
	v_add_u32_e32 v2, 0x1000, v171
	v_pk_add_f32 v[22:23], v[12:13], v[22:23] neg_lo:[0,1] neg_hi:[0,1]
	ds_write2_b64 v2, v[0:1], v[16:17] offset0:100 offset1:253
	v_pk_fma_f32 v[0:1], v[10:11], 2.0, v[18:19] op_sel_hi:[1,0,1] neg_lo:[0,0,1] neg_hi:[0,0,1]
	v_add_u32_e32 v2, 0x1c00, v170
	ds_write2_b64 v2, v[0:1], v[18:19] offset0:22 offset1:175
	v_pk_fma_f32 v[0:1], v[12:13], 2.0, v[22:23] op_sel_hi:[1,0,1] neg_lo:[0,0,1] neg_hi:[0,0,1]
	v_add_u32_e32 v2, 0x2400, v169
	;; [unrolled: 3-line block ×3, first 2 shown]
	ds_write2_b64 v2, v[0:1], v[20:21] offset0:58 offset1:211
	s_waitcnt lgkmcnt(0)
	s_barrier
	ds_read2_b64 v[0:3], v83 offset1:153
	ds_read2_b64 v[4:7], v75 offset0:50 offset1:203
	ds_read2_b64 v[8:11], v77 offset0:100 offset1:253
	;; [unrolled: 1-line block ×5, first 2 shown]
	s_waitcnt lgkmcnt(4)
	v_pk_mul_f32 v[24:25], v[52:53], v[4:5] op_sel:[1,0]
	s_nop 0
	v_pk_fma_f32 v[26:27], v[52:53], v[4:5], v[24:25] op_sel:[0,0,1] op_sel_hi:[0,1,0]
	v_pk_fma_f32 v[4:5], v[52:53], v[4:5], v[24:25] op_sel:[0,0,1] op_sel_hi:[0,1,0] neg_lo:[0,0,1] neg_hi:[0,0,1]
	s_waitcnt lgkmcnt(3)
	v_pk_mul_f32 v[24:25], v[54:55], v[8:9]
	v_mov_b32_e32 v27, v5
	v_pk_fma_f32 v[28:29], v[98:99], v[8:9], v[24:25] op_sel:[0,0,1] op_sel_hi:[1,1,0]
	v_pk_fma_f32 v[8:9], v[98:99], v[8:9], v[24:25] op_sel:[0,0,1] op_sel_hi:[1,1,0] neg_lo:[0,0,1] neg_hi:[0,0,1]
	v_mov_b32_e32 v4, v26
	v_mov_b32_e32 v29, v9
	s_waitcnt lgkmcnt(2)
	v_pk_mul_f32 v[8:9], v[44:45], v[12:13] op_sel:[1,0]
	s_nop 0
	v_pk_fma_f32 v[24:25], v[44:45], v[12:13], v[8:9] op_sel:[0,0,1] op_sel_hi:[1,1,0]
	v_pk_fma_f32 v[8:9], v[44:45], v[12:13], v[8:9] op_sel:[0,0,1] op_sel_hi:[0,1,0] neg_lo:[0,0,1] neg_hi:[0,0,1]
	v_mov_b32_e32 v25, v9
	s_waitcnt lgkmcnt(1)
	v_pk_mul_f32 v[8:9], v[46:47], v[16:17]
	s_nop 0
	v_pk_fma_f32 v[12:13], v[86:87], v[16:17], v[8:9] op_sel:[0,0,1] op_sel_hi:[1,1,0]
	v_pk_fma_f32 v[8:9], v[86:87], v[16:17], v[8:9] op_sel:[0,0,1] op_sel_hi:[1,1,0] neg_lo:[0,0,1] neg_hi:[0,0,1]
	s_nop 0
	v_mov_b32_e32 v13, v9
	s_waitcnt lgkmcnt(0)
	v_pk_mul_f32 v[8:9], v[174:175], v[20:21] op_sel:[1,0]
	s_nop 0
	v_pk_fma_f32 v[16:17], v[174:175], v[20:21], v[8:9] op_sel:[0,0,1] op_sel_hi:[1,1,0]
	v_pk_fma_f32 v[8:9], v[174:175], v[20:21], v[8:9] op_sel:[0,0,1] op_sel_hi:[0,1,0] neg_lo:[0,0,1] neg_hi:[0,0,1]
	v_mov_b32_e32 v17, v9
	v_pk_add_f32 v[20:21], v[24:25], v[16:17]
	v_pk_add_f32 v[30:31], v[24:25], v[16:17] neg_lo:[0,1] neg_hi:[0,1]
	v_fmac_f32_e32 v4, -0.5, v20
	v_pk_add_f32 v[24:25], v[26:27], v[24:25]
	v_fmac_f32_e32 v5, -0.5, v21
	v_fmamk_f32 v20, v31, 0xbf5db3d7, v4
	v_fmac_f32_e32 v4, 0x3f5db3d7, v31
	v_pk_add_f32 v[16:17], v[24:25], v[16:17]
	v_fmamk_f32 v24, v30, 0x3f5db3d7, v5
	v_fmac_f32_e32 v5, 0xbf5db3d7, v30
	v_pk_mul_f32 v[30:31], v[48:49], v[6:7] op_sel:[1,0]
	v_pk_add_f32 v[8:9], v[0:1], v[28:29]
	v_pk_fma_f32 v[32:33], v[48:49], v[6:7], v[30:31] op_sel:[0,0,1] op_sel_hi:[0,1,0]
	v_pk_fma_f32 v[6:7], v[48:49], v[6:7], v[30:31] op_sel:[0,0,1] op_sel_hi:[0,1,0] neg_lo:[0,0,1] neg_hi:[0,0,1]
	v_pk_mul_f32 v[30:31], v[50:51], v[10:11] op_sel:[1,0]
	v_mov_b32_e32 v33, v7
	v_pk_fma_f32 v[34:35], v[50:51], v[10:11], v[30:31] op_sel:[0,0,1] op_sel_hi:[1,1,0]
	v_pk_fma_f32 v[10:11], v[50:51], v[10:11], v[30:31] op_sel:[0,0,1] op_sel_hi:[0,1,0] neg_lo:[0,0,1] neg_hi:[0,0,1]
	v_mov_b32_e32 v35, v11
	v_pk_mul_f32 v[10:11], v[40:41], v[14:15] op_sel:[1,0]
	v_mov_b32_e32 v6, v32
	v_pk_fma_f32 v[30:31], v[40:41], v[14:15], v[10:11] op_sel:[0,0,1] op_sel_hi:[1,1,0]
	v_pk_fma_f32 v[10:11], v[40:41], v[14:15], v[10:11] op_sel:[0,0,1] op_sel_hi:[0,1,0] neg_lo:[0,0,1] neg_hi:[0,0,1]
	v_mov_b32_e32 v31, v11
	v_pk_mul_f32 v[10:11], v[42:43], v[18:19] op_sel:[1,0]
	v_pk_add_f32 v[8:9], v[8:9], v[12:13]
	v_pk_fma_f32 v[14:15], v[42:43], v[18:19], v[10:11] op_sel:[0,0,1] op_sel_hi:[1,1,0]
	v_pk_fma_f32 v[10:11], v[42:43], v[18:19], v[10:11] op_sel:[0,0,1] op_sel_hi:[0,1,0] neg_lo:[0,0,1] neg_hi:[0,0,1]
	v_mov_b32_e32 v15, v11
	v_pk_mul_f32 v[10:11], v[172:173], v[22:23] op_sel:[1,0]
	v_pk_add_f32 v[26:27], v[8:9], v[16:17]
	v_pk_fma_f32 v[18:19], v[172:173], v[22:23], v[10:11] op_sel:[0,0,1] op_sel_hi:[1,1,0]
	v_pk_fma_f32 v[10:11], v[172:173], v[22:23], v[10:11] op_sel:[0,0,1] op_sel_hi:[0,1,0] neg_lo:[0,0,1] neg_hi:[0,0,1]
	v_mov_b32_e32 v19, v11
	v_pk_add_f32 v[22:23], v[30:31], v[18:19]
	v_pk_add_f32 v[36:37], v[30:31], v[18:19] neg_lo:[0,1] neg_hi:[0,1]
	v_fmac_f32_e32 v6, -0.5, v22
	v_pk_add_f32 v[30:31], v[32:33], v[30:31]
	v_fmac_f32_e32 v7, -0.5, v23
	v_fmamk_f32 v22, v37, 0xbf5db3d7, v6
	v_fmac_f32_e32 v6, 0x3f5db3d7, v37
	v_pk_add_f32 v[18:19], v[30:31], v[18:19]
	v_fmamk_f32 v30, v36, 0x3f5db3d7, v7
	v_fmac_f32_e32 v7, 0xbf5db3d7, v36
	v_pk_add_f32 v[36:37], v[28:29], v[12:13]
	v_pk_add_f32 v[12:13], v[28:29], v[12:13] neg_lo:[0,1] neg_hi:[0,1]
	v_pk_fma_f32 v[0:1], v[36:37], 0.5, v[0:1] op_sel_hi:[1,0,1] neg_lo:[1,0,0] neg_hi:[1,0,0]
	v_pk_mul_f32 v[12:13], v[12:13], s[0:1] op_sel_hi:[1,0]
	s_mov_b32 s1, s16
	v_pk_mul_f32 v[24:25], v[24:25], s[0:1] op_sel_hi:[0,1]
	v_pk_fma_f32 v[36:37], v[20:21], s[16:17], v[24:25] neg_lo:[0,0,1] neg_hi:[0,0,1]
	v_pk_fma_f32 v[20:21], v[20:21], s[16:17], v[24:25] op_sel_hi:[0,1,1]
	v_mov_b32_e32 v24, v5
	v_pk_add_f32 v[28:29], v[0:1], v[12:13] op_sel:[0,1] op_sel_hi:[1,0] neg_lo:[0,1] neg_hi:[0,1]
	v_pk_add_f32 v[0:1], v[0:1], v[12:13] op_sel:[0,1] op_sel_hi:[1,0]
	v_pk_mul_f32 v[24:25], v[24:25], s[0:1] op_sel_hi:[0,1]
	v_mov_b32_e32 v13, v1
	v_pk_fma_f32 v[4:5], v[4:5], s[10:11], v[24:25] op_sel_hi:[0,1,1] neg_lo:[0,0,1] neg_hi:[0,0,1]
	v_mov_b32_e32 v1, v29
	v_pk_add_f32 v[10:11], v[2:3], v[34:35]
	v_pk_add_f32 v[24:25], v[0:1], v[4:5]
	v_pk_add_f32 v[0:1], v[0:1], v[4:5] neg_lo:[0,1] neg_hi:[0,1]
	v_pk_add_f32 v[4:5], v[8:9], v[16:17] neg_lo:[0,1] neg_hi:[0,1]
	v_pk_add_f32 v[8:9], v[34:35], v[14:15]
	v_pk_add_f32 v[10:11], v[10:11], v[14:15]
	v_pk_fma_f32 v[2:3], v[8:9], 0.5, v[2:3] op_sel_hi:[1,0,1] neg_lo:[1,0,0] neg_hi:[1,0,0]
	v_pk_add_f32 v[8:9], v[34:35], v[14:15] neg_lo:[0,1] neg_hi:[0,1]
	v_pk_add_f32 v[32:33], v[10:11], v[18:19]
	v_pk_mul_f32 v[8:9], v[8:9], s[0:1] op_sel_hi:[1,0]
	v_pk_mul_f32 v[16:17], v[30:31], s[0:1] op_sel_hi:[0,1]
	ds_write2_b64 v83, v[26:27], v[32:33] offset1:153
	v_pk_add_f32 v[14:15], v[2:3], v[8:9] op_sel:[0,1] op_sel_hi:[1,0] neg_lo:[0,1] neg_hi:[0,1]
	v_pk_add_f32 v[2:3], v[2:3], v[8:9] op_sel:[0,1] op_sel_hi:[1,0]
	v_pk_fma_f32 v[26:27], v[22:23], s[16:17], v[16:17] neg_lo:[0,0,1] neg_hi:[0,0,1]
	v_pk_fma_f32 v[16:17], v[22:23], s[16:17], v[16:17] op_sel_hi:[0,1,1]
	v_mov_b32_e32 v12, v28
	v_mov_b32_e32 v37, v21
	;; [unrolled: 1-line block ×5, first 2 shown]
	v_pk_add_f32 v[20:21], v[12:13], v[36:37]
	v_pk_add_f32 v[16:17], v[8:9], v[26:27]
	v_mov_b32_e32 v14, v7
	ds_write2_b64 v75, v[20:21], v[16:17] offset0:50 offset1:203
	v_pk_mul_f32 v[16:17], v[14:15], s[0:1] op_sel_hi:[0,1]
	v_pk_fma_f32 v[6:7], v[6:7], s[10:11], v[16:17] op_sel_hi:[0,1,1] neg_lo:[0,0,1] neg_hi:[0,0,1]
	v_mov_b32_e32 v3, v15
	v_pk_add_f32 v[10:11], v[10:11], v[18:19] neg_lo:[0,1] neg_hi:[0,1]
	v_pk_add_f32 v[12:13], v[12:13], v[36:37] neg_lo:[0,1] neg_hi:[0,1]
	v_pk_add_f32 v[14:15], v[2:3], v[6:7]
	ds_write2_b64 v74, v[4:5], v[10:11] offset0:22 offset1:175
	v_pk_add_f32 v[4:5], v[8:9], v[26:27] neg_lo:[0,1] neg_hi:[0,1]
	v_pk_add_f32 v[2:3], v[2:3], v[6:7] neg_lo:[0,1] neg_hi:[0,1]
	ds_write2_b64 v77, v[24:25], v[14:15] offset0:100 offset1:253
	ds_write2_b64 v78, v[12:13], v[4:5] offset0:72 offset1:225
	;; [unrolled: 1-line block ×3, first 2 shown]
	s_waitcnt lgkmcnt(0)
	s_barrier
	s_and_b64 exec, exec, s[2:3]
	s_cbranch_execz .LBB0_15
; %bb.14:
	global_load_dwordx2 v[0:1], v80, s[8:9]
	v_mad_u64_u32 v[4:5], s[0:1], s6, v250, 0
	ds_read_b64 v[6:7], v83
	v_mad_u64_u32 v[8:9], s[2:3], s4, v82, 0
	v_mov_b32_e32 v10, v5
	v_mov_b32_e32 v12, v9
	v_mad_u64_u32 v[10:11], s[2:3], s7, v250, v[10:11]
	v_mov_b32_e32 v2, s12
	v_mov_b32_e32 v3, s13
	;; [unrolled: 3-line block ×3, first 2 shown]
	v_lshl_add_u64 v[2:3], v[4:5], 3, v[2:3]
	v_lshl_add_u64 v[4:5], v[8:9], 3, v[2:3]
	s_mov_b32 s0, 0x672e4abd
	s_mov_b32 s1, 0x3f41d8f5
	v_mov_b32_e32 v12, 0x360
	s_mul_i32 s2, s5, 0x360
	v_mov_b32_e32 v81, 0
	s_movk_i32 s3, 0x2000
	s_waitcnt vmcnt(0) lgkmcnt(0)
	v_mul_f32_e32 v2, v7, v1
	v_mul_f32_e32 v1, v6, v1
	v_fmac_f32_e32 v2, v6, v0
	v_fma_f32 v3, v0, v7, -v1
	v_cvt_f64_f32_e32 v[0:1], v2
	v_cvt_f64_f32_e32 v[2:3], v3
	v_mul_f64 v[0:1], v[0:1], s[0:1]
	v_mul_f64 v[2:3], v[2:3], s[0:1]
	v_cvt_f32_f64_e32 v0, v[0:1]
	v_cvt_f32_f64_e32 v1, v[2:3]
	global_store_dwordx2 v[4:5], v[0:1], off
	global_load_dwordx2 v[6:7], v80, s[8:9] offset:864
	ds_read2_b64 v[0:3], v80 offset0:108 offset1:216
	v_mad_u64_u32 v[4:5], s[6:7], s4, v12, v[4:5]
	v_add_u32_e32 v5, s2, v5
	s_waitcnt vmcnt(0) lgkmcnt(0)
	v_mul_f32_e32 v8, v1, v7
	v_mul_f32_e32 v7, v0, v7
	v_fmac_f32_e32 v8, v0, v6
	v_fma_f32 v6, v6, v1, -v7
	v_cvt_f64_f32_e32 v[0:1], v8
	v_cvt_f64_f32_e32 v[6:7], v6
	v_mul_f64 v[0:1], v[0:1], s[0:1]
	v_mul_f64 v[6:7], v[6:7], s[0:1]
	v_cvt_f32_f64_e32 v0, v[0:1]
	v_cvt_f32_f64_e32 v1, v[6:7]
	global_store_dwordx2 v[4:5], v[0:1], off
	global_load_dwordx2 v[0:1], v80, s[8:9] offset:1728
	v_mad_u64_u32 v[4:5], s[6:7], s4, v12, v[4:5]
	v_add_u32_e32 v5, s2, v5
	s_waitcnt vmcnt(0)
	v_mul_f32_e32 v6, v3, v1
	v_mul_f32_e32 v1, v2, v1
	v_fmac_f32_e32 v6, v2, v0
	v_fma_f32 v2, v0, v3, -v1
	v_cvt_f64_f32_e32 v[0:1], v6
	v_cvt_f64_f32_e32 v[2:3], v2
	v_mul_f64 v[0:1], v[0:1], s[0:1]
	v_mul_f64 v[2:3], v[2:3], s[0:1]
	v_cvt_f32_f64_e32 v0, v[0:1]
	v_cvt_f32_f64_e32 v1, v[2:3]
	global_store_dwordx2 v[4:5], v[0:1], off
	global_load_dwordx2 v[6:7], v80, s[8:9] offset:2592
	v_add_u32_e32 v0, 0x800, v80
	ds_read2_b64 v[0:3], v0 offset0:68 offset1:176
	v_mad_u64_u32 v[4:5], s[6:7], s4, v12, v[4:5]
	v_add_u32_e32 v5, s2, v5
	v_mad_u64_u32 v[10:11], s[6:7], s4, v12, v[4:5]
	v_add_u32_e32 v11, s2, v11
	s_waitcnt vmcnt(0) lgkmcnt(0)
	v_mul_f32_e32 v8, v1, v7
	v_mul_f32_e32 v7, v0, v7
	v_fmac_f32_e32 v8, v0, v6
	v_fma_f32 v6, v6, v1, -v7
	v_cvt_f64_f32_e32 v[0:1], v8
	v_cvt_f64_f32_e32 v[6:7], v6
	v_mul_f64 v[0:1], v[0:1], s[0:1]
	v_mul_f64 v[6:7], v[6:7], s[0:1]
	v_cvt_f32_f64_e32 v0, v[0:1]
	v_cvt_f32_f64_e32 v1, v[6:7]
	global_store_dwordx2 v[4:5], v[0:1], off
	global_load_dwordx2 v[6:7], v80, s[8:9] offset:3456
	v_lshl_add_u64 v[0:1], s[8:9], 0, v[80:81]
	v_add_co_u32_e32 v8, vcc, s14, v0
	s_waitcnt vmcnt(0)
	v_mul_f32_e32 v4, v3, v7
	v_mul_f32_e32 v5, v2, v7
	v_fmac_f32_e32 v4, v2, v6
	v_fma_f32 v5, v6, v3, -v5
	v_cvt_f64_f32_e32 v[2:3], v4
	v_cvt_f64_f32_e32 v[4:5], v5
	v_mul_f64 v[2:3], v[2:3], s[0:1]
	v_mul_f64 v[4:5], v[4:5], s[0:1]
	v_cvt_f32_f64_e32 v2, v[2:3]
	v_cvt_f32_f64_e32 v3, v[4:5]
	v_addc_co_u32_e32 v9, vcc, 0, v1, vcc
	global_store_dwordx2 v[10:11], v[2:3], off
	global_load_dwordx2 v[6:7], v[8:9], off offset:224
	v_add_u32_e32 v2, 0x1000, v80
	ds_read2_b64 v[2:5], v2 offset0:28 offset1:136
	v_mad_u64_u32 v[10:11], s[6:7], s4, v12, v[10:11]
	v_add_u32_e32 v11, s2, v11
	s_waitcnt vmcnt(0) lgkmcnt(0)
	v_mul_f32_e32 v13, v3, v7
	v_mul_f32_e32 v7, v2, v7
	v_fmac_f32_e32 v13, v2, v6
	v_fma_f32 v6, v6, v3, -v7
	v_cvt_f64_f32_e32 v[2:3], v13
	v_cvt_f64_f32_e32 v[6:7], v6
	v_mul_f64 v[2:3], v[2:3], s[0:1]
	v_mul_f64 v[6:7], v[6:7], s[0:1]
	v_cvt_f32_f64_e32 v2, v[2:3]
	v_cvt_f32_f64_e32 v3, v[6:7]
	global_store_dwordx2 v[10:11], v[2:3], off
	global_load_dwordx2 v[2:3], v[8:9], off offset:1088
	v_mad_u64_u32 v[6:7], s[6:7], s4, v12, v[10:11]
	v_add_u32_e32 v7, s2, v7
	s_waitcnt vmcnt(0)
	v_mul_f32_e32 v10, v5, v3
	v_mul_f32_e32 v3, v4, v3
	v_fmac_f32_e32 v10, v4, v2
	v_fma_f32 v4, v2, v5, -v3
	v_cvt_f64_f32_e32 v[2:3], v10
	v_cvt_f64_f32_e32 v[4:5], v4
	v_mul_f64 v[2:3], v[2:3], s[0:1]
	v_mul_f64 v[4:5], v[4:5], s[0:1]
	v_cvt_f32_f64_e32 v2, v[2:3]
	v_cvt_f32_f64_e32 v3, v[4:5]
	global_store_dwordx2 v[6:7], v[2:3], off
	global_load_dwordx2 v[10:11], v[8:9], off offset:1952
	v_add_u32_e32 v2, 0x1400, v80
	ds_read2_b64 v[2:5], v2 offset0:116 offset1:224
	v_mad_u64_u32 v[6:7], s[6:7], s4, v12, v[6:7]
	v_add_u32_e32 v7, s2, v7
	s_waitcnt vmcnt(0) lgkmcnt(0)
	v_mul_f32_e32 v13, v3, v11
	v_mul_f32_e32 v11, v2, v11
	v_fmac_f32_e32 v13, v2, v10
	v_fma_f32 v10, v10, v3, -v11
	v_cvt_f64_f32_e32 v[2:3], v13
	v_cvt_f64_f32_e32 v[10:11], v10
	v_mul_f64 v[2:3], v[2:3], s[0:1]
	v_mul_f64 v[10:11], v[10:11], s[0:1]
	v_cvt_f32_f64_e32 v2, v[2:3]
	v_cvt_f32_f64_e32 v3, v[10:11]
	global_store_dwordx2 v[6:7], v[2:3], off
	global_load_dwordx2 v[2:3], v[8:9], off offset:2816
	v_mad_u64_u32 v[6:7], s[6:7], s4, v12, v[6:7]
	v_add_u32_e32 v7, s2, v7
	s_waitcnt vmcnt(0)
	v_mul_f32_e32 v10, v5, v3
	v_mul_f32_e32 v3, v4, v3
	v_fmac_f32_e32 v10, v4, v2
	v_fma_f32 v4, v2, v5, -v3
	v_cvt_f64_f32_e32 v[2:3], v10
	v_cvt_f64_f32_e32 v[4:5], v4
	v_mul_f64 v[2:3], v[2:3], s[0:1]
	v_mul_f64 v[4:5], v[4:5], s[0:1]
	v_cvt_f32_f64_e32 v2, v[2:3]
	v_cvt_f32_f64_e32 v3, v[4:5]
	global_store_dwordx2 v[6:7], v[2:3], off
	global_load_dwordx2 v[8:9], v[8:9], off offset:3680
	v_add_u32_e32 v2, 0x1c00, v80
	ds_read2_b64 v[2:5], v2 offset0:76 offset1:184
	v_mad_u64_u32 v[6:7], s[6:7], s4, v12, v[6:7]
	v_add_co_u32_e32 v10, vcc, s3, v0
	v_add_u32_e32 v7, s2, v7
	s_nop 0
	v_addc_co_u32_e32 v11, vcc, 0, v1, vcc
	s_movk_i32 s3, 0x3000
	s_waitcnt vmcnt(0) lgkmcnt(0)
	v_mul_f32_e32 v13, v3, v9
	v_mul_f32_e32 v9, v2, v9
	v_fmac_f32_e32 v13, v2, v8
	v_fma_f32 v8, v8, v3, -v9
	v_cvt_f64_f32_e32 v[2:3], v13
	v_cvt_f64_f32_e32 v[8:9], v8
	v_mul_f64 v[2:3], v[2:3], s[0:1]
	v_mul_f64 v[8:9], v[8:9], s[0:1]
	v_cvt_f32_f64_e32 v2, v[2:3]
	v_cvt_f32_f64_e32 v3, v[8:9]
	global_store_dwordx2 v[6:7], v[2:3], off
	global_load_dwordx2 v[2:3], v[10:11], off offset:448
	v_mad_u64_u32 v[6:7], s[6:7], s4, v12, v[6:7]
	v_add_u32_e32 v7, s2, v7
	s_waitcnt vmcnt(0)
	v_mul_f32_e32 v8, v5, v3
	v_mul_f32_e32 v3, v4, v3
	v_fmac_f32_e32 v8, v4, v2
	v_fma_f32 v4, v2, v5, -v3
	v_cvt_f64_f32_e32 v[2:3], v8
	v_cvt_f64_f32_e32 v[4:5], v4
	v_mul_f64 v[2:3], v[2:3], s[0:1]
	v_mul_f64 v[4:5], v[4:5], s[0:1]
	v_cvt_f32_f64_e32 v2, v[2:3]
	v_cvt_f32_f64_e32 v3, v[4:5]
	global_store_dwordx2 v[6:7], v[2:3], off
	global_load_dwordx2 v[8:9], v[10:11], off offset:1312
	v_add_u32_e32 v2, 0x2400, v80
	ds_read2_b64 v[2:5], v2 offset0:36 offset1:144
	v_mad_u64_u32 v[6:7], s[6:7], s4, v12, v[6:7]
	v_add_u32_e32 v7, s2, v7
	s_waitcnt vmcnt(0) lgkmcnt(0)
	v_mul_f32_e32 v13, v3, v9
	v_mul_f32_e32 v9, v2, v9
	v_fmac_f32_e32 v13, v2, v8
	v_fma_f32 v8, v8, v3, -v9
	v_cvt_f64_f32_e32 v[2:3], v13
	v_cvt_f64_f32_e32 v[8:9], v8
	v_mul_f64 v[2:3], v[2:3], s[0:1]
	v_mul_f64 v[8:9], v[8:9], s[0:1]
	v_cvt_f32_f64_e32 v2, v[2:3]
	v_cvt_f32_f64_e32 v3, v[8:9]
	global_store_dwordx2 v[6:7], v[2:3], off
	global_load_dwordx2 v[2:3], v[10:11], off offset:2176
	v_mad_u64_u32 v[6:7], s[6:7], s4, v12, v[6:7]
	v_add_u32_e32 v7, s2, v7
	s_waitcnt vmcnt(0)
	v_mul_f32_e32 v8, v5, v3
	v_mul_f32_e32 v3, v4, v3
	v_fmac_f32_e32 v8, v4, v2
	v_fma_f32 v4, v2, v5, -v3
	v_cvt_f64_f32_e32 v[2:3], v8
	v_cvt_f64_f32_e32 v[4:5], v4
	v_mul_f64 v[2:3], v[2:3], s[0:1]
	v_mul_f64 v[4:5], v[4:5], s[0:1]
	v_cvt_f32_f64_e32 v2, v[2:3]
	v_cvt_f32_f64_e32 v3, v[4:5]
	global_store_dwordx2 v[6:7], v[2:3], off
	global_load_dwordx2 v[8:9], v[10:11], off offset:3040
	v_add_u32_e32 v2, 0x2800, v80
	ds_read2_b64 v[2:5], v2 offset0:124 offset1:232
	v_mad_u64_u32 v[6:7], s[6:7], s4, v12, v[6:7]
	v_add_u32_e32 v7, s2, v7
	s_waitcnt vmcnt(0) lgkmcnt(0)
	v_mul_f32_e32 v13, v3, v9
	v_mul_f32_e32 v9, v2, v9
	v_fmac_f32_e32 v13, v2, v8
	v_fma_f32 v8, v8, v3, -v9
	v_cvt_f64_f32_e32 v[2:3], v13
	v_cvt_f64_f32_e32 v[8:9], v8
	v_mul_f64 v[2:3], v[2:3], s[0:1]
	v_mul_f64 v[8:9], v[8:9], s[0:1]
	v_cvt_f32_f64_e32 v2, v[2:3]
	v_cvt_f32_f64_e32 v3, v[8:9]
	global_store_dwordx2 v[6:7], v[2:3], off
	global_load_dwordx2 v[2:3], v[10:11], off offset:3904
	v_add_co_u32_e32 v8, vcc, s3, v0
	v_mad_u64_u32 v[6:7], s[6:7], s4, v12, v[6:7]
	s_nop 0
	v_addc_co_u32_e32 v9, vcc, 0, v1, vcc
	v_add_u32_e32 v7, s2, v7
	s_waitcnt vmcnt(0)
	v_mul_f32_e32 v0, v5, v3
	v_mul_f32_e32 v1, v4, v3
	v_fmac_f32_e32 v0, v4, v2
	v_fma_f32 v2, v2, v5, -v1
	v_cvt_f64_f32_e32 v[0:1], v0
	v_cvt_f64_f32_e32 v[2:3], v2
	v_mul_f64 v[0:1], v[0:1], s[0:1]
	v_mul_f64 v[2:3], v[2:3], s[0:1]
	v_cvt_f32_f64_e32 v0, v[0:1]
	v_cvt_f32_f64_e32 v1, v[2:3]
	global_store_dwordx2 v[6:7], v[0:1], off
	global_load_dwordx2 v[4:5], v[8:9], off offset:672
	v_add_u32_e32 v0, 0x3000, v80
	ds_read2_b64 v[0:3], v0 offset0:84 offset1:192
	v_mad_u64_u32 v[6:7], s[6:7], s4, v12, v[6:7]
	v_add_u32_e32 v7, s2, v7
	s_waitcnt vmcnt(0) lgkmcnt(0)
	v_mul_f32_e32 v10, v1, v5
	v_mul_f32_e32 v5, v0, v5
	v_fmac_f32_e32 v10, v0, v4
	v_fma_f32 v4, v4, v1, -v5
	v_cvt_f64_f32_e32 v[0:1], v10
	v_cvt_f64_f32_e32 v[4:5], v4
	v_mul_f64 v[0:1], v[0:1], s[0:1]
	v_mul_f64 v[4:5], v[4:5], s[0:1]
	v_cvt_f32_f64_e32 v0, v[0:1]
	v_cvt_f32_f64_e32 v1, v[4:5]
	global_store_dwordx2 v[6:7], v[0:1], off
	global_load_dwordx2 v[0:1], v[8:9], off offset:1536
	v_mad_u64_u32 v[4:5], s[4:5], s4, v12, v[6:7]
	v_add_u32_e32 v5, s2, v5
	s_waitcnt vmcnt(0)
	v_mul_f32_e32 v6, v3, v1
	v_mul_f32_e32 v1, v2, v1
	v_fmac_f32_e32 v6, v2, v0
	v_fma_f32 v2, v0, v3, -v1
	v_cvt_f64_f32_e32 v[0:1], v6
	v_cvt_f64_f32_e32 v[2:3], v2
	v_mul_f64 v[0:1], v[0:1], s[0:1]
	v_mul_f64 v[2:3], v[2:3], s[0:1]
	v_cvt_f32_f64_e32 v0, v[0:1]
	v_cvt_f32_f64_e32 v1, v[2:3]
	global_store_dwordx2 v[4:5], v[0:1], off
.LBB0_15:
	s_endpgm
	.section	.rodata,"a",@progbits
	.p2align	6, 0x0
	.amdhsa_kernel bluestein_single_fwd_len1836_dim1_sp_op_CI_CI
		.amdhsa_group_segment_fixed_size 14688
		.amdhsa_private_segment_fixed_size 0
		.amdhsa_kernarg_size 104
		.amdhsa_user_sgpr_count 2
		.amdhsa_user_sgpr_dispatch_ptr 0
		.amdhsa_user_sgpr_queue_ptr 0
		.amdhsa_user_sgpr_kernarg_segment_ptr 1
		.amdhsa_user_sgpr_dispatch_id 0
		.amdhsa_user_sgpr_kernarg_preload_length 0
		.amdhsa_user_sgpr_kernarg_preload_offset 0
		.amdhsa_user_sgpr_private_segment_size 0
		.amdhsa_uses_dynamic_stack 0
		.amdhsa_enable_private_segment 0
		.amdhsa_system_sgpr_workgroup_id_x 1
		.amdhsa_system_sgpr_workgroup_id_y 0
		.amdhsa_system_sgpr_workgroup_id_z 0
		.amdhsa_system_sgpr_workgroup_info 0
		.amdhsa_system_vgpr_workitem_id 0
		.amdhsa_next_free_vgpr 320
		.amdhsa_next_free_sgpr 64
		.amdhsa_accum_offset 256
		.amdhsa_reserve_vcc 1
		.amdhsa_float_round_mode_32 0
		.amdhsa_float_round_mode_16_64 0
		.amdhsa_float_denorm_mode_32 3
		.amdhsa_float_denorm_mode_16_64 3
		.amdhsa_dx10_clamp 1
		.amdhsa_ieee_mode 1
		.amdhsa_fp16_overflow 0
		.amdhsa_tg_split 0
		.amdhsa_exception_fp_ieee_invalid_op 0
		.amdhsa_exception_fp_denorm_src 0
		.amdhsa_exception_fp_ieee_div_zero 0
		.amdhsa_exception_fp_ieee_overflow 0
		.amdhsa_exception_fp_ieee_underflow 0
		.amdhsa_exception_fp_ieee_inexact 0
		.amdhsa_exception_int_div_zero 0
	.end_amdhsa_kernel
	.text
.Lfunc_end0:
	.size	bluestein_single_fwd_len1836_dim1_sp_op_CI_CI, .Lfunc_end0-bluestein_single_fwd_len1836_dim1_sp_op_CI_CI
                                        ; -- End function
	.section	.AMDGPU.csdata,"",@progbits
; Kernel info:
; codeLenInByte = 20172
; NumSgprs: 70
; NumVgprs: 256
; NumAgprs: 64
; TotalNumVgprs: 320
; ScratchSize: 0
; MemoryBound: 0
; FloatMode: 240
; IeeeMode: 1
; LDSByteSize: 14688 bytes/workgroup (compile time only)
; SGPRBlocks: 8
; VGPRBlocks: 39
; NumSGPRsForWavesPerEU: 70
; NumVGPRsForWavesPerEU: 320
; AccumOffset: 256
; Occupancy: 1
; WaveLimiterHint : 1
; COMPUTE_PGM_RSRC2:SCRATCH_EN: 0
; COMPUTE_PGM_RSRC2:USER_SGPR: 2
; COMPUTE_PGM_RSRC2:TRAP_HANDLER: 0
; COMPUTE_PGM_RSRC2:TGID_X_EN: 1
; COMPUTE_PGM_RSRC2:TGID_Y_EN: 0
; COMPUTE_PGM_RSRC2:TGID_Z_EN: 0
; COMPUTE_PGM_RSRC2:TIDIG_COMP_CNT: 0
; COMPUTE_PGM_RSRC3_GFX90A:ACCUM_OFFSET: 63
; COMPUTE_PGM_RSRC3_GFX90A:TG_SPLIT: 0
	.text
	.p2alignl 6, 3212836864
	.fill 256, 4, 3212836864
	.type	__hip_cuid_e8b9cb2e8324e20e,@object ; @__hip_cuid_e8b9cb2e8324e20e
	.section	.bss,"aw",@nobits
	.globl	__hip_cuid_e8b9cb2e8324e20e
__hip_cuid_e8b9cb2e8324e20e:
	.byte	0                               ; 0x0
	.size	__hip_cuid_e8b9cb2e8324e20e, 1

	.ident	"AMD clang version 19.0.0git (https://github.com/RadeonOpenCompute/llvm-project roc-6.4.0 25133 c7fe45cf4b819c5991fe208aaa96edf142730f1d)"
	.section	".note.GNU-stack","",@progbits
	.addrsig
	.addrsig_sym __hip_cuid_e8b9cb2e8324e20e
	.amdgpu_metadata
---
amdhsa.kernels:
  - .agpr_count:     64
    .args:
      - .actual_access:  read_only
        .address_space:  global
        .offset:         0
        .size:           8
        .value_kind:     global_buffer
      - .actual_access:  read_only
        .address_space:  global
        .offset:         8
        .size:           8
        .value_kind:     global_buffer
      - .actual_access:  read_only
        .address_space:  global
        .offset:         16
        .size:           8
        .value_kind:     global_buffer
      - .actual_access:  read_only
        .address_space:  global
        .offset:         24
        .size:           8
        .value_kind:     global_buffer
      - .actual_access:  read_only
        .address_space:  global
        .offset:         32
        .size:           8
        .value_kind:     global_buffer
      - .offset:         40
        .size:           8
        .value_kind:     by_value
      - .address_space:  global
        .offset:         48
        .size:           8
        .value_kind:     global_buffer
      - .address_space:  global
        .offset:         56
        .size:           8
        .value_kind:     global_buffer
      - .address_space:  global
        .offset:         64
        .size:           8
        .value_kind:     global_buffer
      - .address_space:  global
        .offset:         72
        .size:           8
        .value_kind:     global_buffer
      - .offset:         80
        .size:           4
        .value_kind:     by_value
      - .address_space:  global
        .offset:         88
        .size:           8
        .value_kind:     global_buffer
      - .address_space:  global
        .offset:         96
        .size:           8
        .value_kind:     global_buffer
    .group_segment_fixed_size: 14688
    .kernarg_segment_align: 8
    .kernarg_segment_size: 104
    .language:       OpenCL C
    .language_version:
      - 2
      - 0
    .max_flat_workgroup_size: 153
    .name:           bluestein_single_fwd_len1836_dim1_sp_op_CI_CI
    .private_segment_fixed_size: 0
    .sgpr_count:     70
    .sgpr_spill_count: 0
    .symbol:         bluestein_single_fwd_len1836_dim1_sp_op_CI_CI.kd
    .uniform_work_group_size: 1
    .uses_dynamic_stack: false
    .vgpr_count:     320
    .vgpr_spill_count: 0
    .wavefront_size: 64
amdhsa.target:   amdgcn-amd-amdhsa--gfx950
amdhsa.version:
  - 1
  - 2
...

	.end_amdgpu_metadata
